;; amdgpu-corpus repo=zjin-lcf/HeCBench kind=compiled arch=gfx90a opt=O3
	.text
	.amdgcn_target "amdgcn-amd-amdhsa--gfx90a"
	.amdhsa_code_object_version 6
	.protected	_Z5bonds12inArgsStruct13resultsStructi ; -- Begin function _Z5bonds12inArgsStruct13resultsStructi
	.globl	_Z5bonds12inArgsStruct13resultsStructi
	.p2align	8
	.type	_Z5bonds12inArgsStruct13resultsStructi,@function
_Z5bonds12inArgsStruct13resultsStructi: ; @_Z5bonds12inArgsStruct13resultsStructi
; %bb.0:
	s_load_dword s6, s[4:5], 0x6c
	s_load_dword s7, s[4:5], 0x58
	s_add_u32 s0, s0, s9
	s_addc_u32 s1, s1, 0
	s_waitcnt lgkmcnt(0)
	s_and_b32 s6, s6, 0xffff
	s_mul_i32 s8, s8, s6
	v_add_u32_e32 v4, s8, v0
	v_cmp_gt_i32_e32 vcc, s7, v4
	s_and_saveexec_b64 s[6:7], vcc
	s_cbranch_execz .LBB0_225
; %bb.1:
	s_load_dwordx8 s[16:23], s[4:5], 0x10
	s_load_dwordx2 s[14:15], s[4:5], 0x0
	v_ashrrev_i32_e32 v5, 31, v4
	v_mov_b32_e32 v48, 0
	s_waitcnt lgkmcnt(0)
	v_mov_b32_e32 v0, s22
	v_mov_b32_e32 v1, s23
	v_mad_i64_i32 v[2:3], s[6:7], v4, 36, v[0:1]
	global_load_dword v0, v[2:3], off offset:28
	s_nop 0
	buffer_store_dword v2, off, s[0:3], 0 offset:1032 ; 4-byte Folded Spill
	s_nop 0
	buffer_store_dword v3, off, s[0:3], 0 offset:1036 ; 4-byte Folded Spill
	global_load_dword v1, v[2:3], off offset:12
	s_nop 0
	buffer_store_dword v4, off, s[0:3], 0 offset:1040 ; 4-byte Folded Spill
	s_nop 0
	buffer_store_dword v5, off, s[0:3], 0 offset:1044 ; 4-byte Folded Spill
	s_waitcnt vmcnt(2)
	v_cmp_gt_i32_e32 vcc, v0, v1
	s_and_saveexec_b64 s[8:9], vcc
	s_cbranch_execz .LBB0_9
; %bb.2:
	buffer_load_dword v0, off, s[0:3], 0 offset:1032 ; 4-byte Folded Reload
	buffer_load_dword v1, off, s[0:3], 0 offset:1036 ; 4-byte Folded Reload
	s_mov_b32 s22, 0
	s_mov_b64 s[10:11], 0
	s_mov_b32 s23, 0xaaaaaaab
	s_movk_i32 s24, 0xffee
	v_mov_b32_e32 v3, 1
	v_mov_b32_e32 v4, 0
	;; [unrolled: 1-line block ×75, first 2 shown]
	s_waitcnt vmcnt(0)
	global_load_dwordx3 v[0:2], v[0:1], off offset:16
	v_mov_b32_e32 v106, 0x6b02
	v_mov_b32_e32 v107, 0x6995
	;; [unrolled: 1-line block ×46, first 2 shown]
	s_branch .LBB0_4
.LBB0_3:                                ;   in Loop: Header=BB0_4 Depth=1
	s_or_b64 exec, exec, s[12:13]
	v_add_u32_e32 v0, 0xfffff894, v2
	buffer_store_dword v3, off, s[0:3], 0
	buffer_store_dword v3, off, s[0:3], 0 offset:4
	buffer_store_dword v3, off, s[0:3], 0 offset:8
	;; [unrolled: 1-line block ×29, first 2 shown]
	buffer_store_byte v3, off, s[0:3], 0 offset:120
	v_add_u32_e32 v39, 0, v0
	buffer_load_ubyte v40, v39, s[0:3], 0 offen
	v_lshl_add_u32 v0, v0, 2, v4
	s_add_i32 s22, s22, 1
	s_waitcnt vmcnt(0)
	v_and_b32_e32 v40, 1, v40
	v_cmp_eq_u32_e32 vcc, 1, v40
	v_mov_b32_e32 v40, 29
	buffer_store_dword v40, off, s[0:3], 0 offset:564
	buffer_store_dword v6, off, s[0:3], 0 offset:560
	;; [unrolled: 1-line block ×12, first 2 shown]
	v_mov_b32_e32 v40, 28
	buffer_store_dword v40, off, s[0:3], 0 offset:4
	buffer_store_dword v6, off, s[0:3], 0
	buffer_store_dword v7, off, s[0:3], 0 offset:12
	buffer_store_dword v6, off, s[0:3], 0 offset:8
	;; [unrolled: 1-line block ×10, first 2 shown]
	v_lshl_add_u32 v40, v48, 2, -4
	v_cndmask_b32_e32 v41, v4, v13, vcc
	v_add_u32_e32 v41, v41, v40
	buffer_load_dword v41, v41, s[0:3], 0 offen
	s_nop 0
	buffer_store_dword v3, off, s[0:3], 0
	buffer_store_dword v3, off, s[0:3], 0 offset:4
	buffer_store_dword v3, off, s[0:3], 0 offset:8
	;; [unrolled: 1-line block ×29, first 2 shown]
	buffer_store_byte v3, off, s[0:3], 0 offset:120
	buffer_load_ubyte v39, v39, s[0:3], 0 offen
	s_nop 0
	buffer_store_dword v6, off, s[0:3], 0 offset:564
	buffer_store_dword v14, off, s[0:3], 0 offset:560
	s_waitcnt vmcnt(34)
	v_min_i32_e32 v1, v41, v1
	s_waitcnt vmcnt(2)
	v_and_b32_e32 v39, 1, v39
	v_cmp_eq_u32_e32 vcc, 1, v39
	v_cndmask_b32_e32 v39, v4, v13, vcc
	v_add_u32_e32 v39, v39, v40
	v_mov_b32_e32 v40, 0x5b
	buffer_store_dword v40, off, s[0:3], 0 offset:572
	v_mov_b32_e32 v40, 60
	buffer_store_dword v40, off, s[0:3], 0 offset:568
	v_mov_b32_e32 v40, 0x98
	buffer_store_dword v40, off, s[0:3], 0 offset:580
	v_mov_b32_e32 v40, 0x79
	buffer_store_dword v40, off, s[0:3], 0 offset:576
	v_mov_b32_e32 v40, 0xd5
	buffer_store_dword v40, off, s[0:3], 0 offset:588
	v_mov_b32_e32 v40, 0xb6
	buffer_store_dword v40, off, s[0:3], 0 offset:584
	v_mov_b32_e32 v40, 0x112
	buffer_store_dword v40, off, s[0:3], 0 offset:596
	v_mov_b32_e32 v40, 0xf4
	buffer_store_dword v40, off, s[0:3], 0 offset:592
	v_mov_b32_e32 v40, 0x14f
	buffer_store_dword v40, off, s[0:3], 0 offset:604
	v_mov_b32_e32 v40, 0x131
	buffer_store_dword v40, off, s[0:3], 0 offset:600
	buffer_store_dword v37, off, s[0:3], 0 offset:608
	buffer_store_dword v6, off, s[0:3], 0 offset:4
	buffer_store_dword v14, off, s[0:3], 0
	v_mov_b32_e32 v40, 0x5a
	buffer_store_dword v40, off, s[0:3], 0 offset:12
	v_mov_b32_e32 v40, 59
	buffer_store_dword v40, off, s[0:3], 0 offset:8
	v_mov_b32_e32 v40, 0x97
	buffer_store_dword v40, off, s[0:3], 0 offset:20
	v_mov_b32_e32 v40, 0x78
	buffer_store_dword v40, off, s[0:3], 0 offset:16
	v_mov_b32_e32 v40, 0xd4
	buffer_store_dword v40, off, s[0:3], 0 offset:28
	v_mov_b32_e32 v40, 0xb5
	buffer_store_dword v40, off, s[0:3], 0 offset:24
	v_mov_b32_e32 v40, 0x111
	buffer_store_dword v40, off, s[0:3], 0 offset:36
	v_mov_b32_e32 v40, 0xf3
	buffer_store_dword v40, off, s[0:3], 0 offset:32
	v_mov_b32_e32 v40, 0x14e
	buffer_store_dword v40, off, s[0:3], 0 offset:44
	v_mov_b32_e32 v40, 0x130
	buffer_store_dword v40, off, s[0:3], 0 offset:40
	v_mov_b32_e32 v40, 0x16d
	buffer_store_dword v40, off, s[0:3], 0 offset:48
	v_mov_b32_e32 v40, 0x448
	buffer_load_dword v39, v39, s[0:3], 0 offen
	s_nop 0
	buffer_store_dword v37, off, s[0:3], 0 offset:4
	buffer_store_dword v14, off, s[0:3], 0
	buffer_store_dword v40, off, s[0:3], 0 offset:12
	v_mov_b32_e32 v40, 0x2db
	buffer_store_dword v40, off, s[0:3], 0 offset:8
	v_mov_b32_e32 v40, 0x723
	;; [unrolled: 2-line block ×3, first 2 shown]
	buffer_store_dword v40, off, s[0:3], 0 offset:16
	buffer_store_dword v42, off, s[0:3], 0 offset:28
	;; [unrolled: 1-line block ×116, first 2 shown]
	buffer_load_dword v0, v0, s[0:3], 0 offen
	s_nop 0
	buffer_load_dword v40, off, s[0:3], 0 offset:1032 ; 4-byte Folded Reload
	buffer_load_dword v41, off, s[0:3], 0 offset:1036 ; 4-byte Folded Reload
	s_waitcnt vmcnt(2)
	v_add3_u32 v0, v39, v1, v0
	s_waitcnt vmcnt(0)
	global_load_dword v39, v[40:41], off offset:12
	s_waitcnt vmcnt(0)
	v_cmp_le_i32_e32 vcc, v0, v39
	v_mov_b32_e32 v0, v48
	s_or_b64 s[10:11], vcc, s[10:11]
	v_mov_b32_e32 v48, s22
	s_andn2_b64 exec, exec, s[10:11]
	s_cbranch_execz .LBB0_8
.LBB0_4:                                ; =>This Inner Loop Header: Depth=1
	s_waitcnt vmcnt(0)
	v_add_u32_e32 v48, -6, v0
	v_cmp_lt_i32_e32 vcc, 12, v48
	s_and_saveexec_b64 s[6:7], vcc
; %bb.5:                                ;   in Loop: Header=BB0_4 Depth=1
	v_sub_u32_e64 v48, v48, 24 clamp
	v_add_u32_e32 v48, 11, v48
	v_mul_hi_u32 v48, v48, s23
	v_lshrrev_b32_e32 v39, 3, v48
	v_mul_lo_u32 v48, v39, -12
	v_add3_u32 v48, v0, v48, s24
	v_add3_u32 v2, v2, v39, 1
; %bb.6:                                ;   in Loop: Header=BB0_4 Depth=1
	s_or_b64 exec, exec, s[6:7]
	v_cmp_gt_i32_e32 vcc, 1, v48
	s_and_saveexec_b64 s[12:13], vcc
	s_cbranch_execz .LBB0_3
; %bb.7:                                ;   in Loop: Header=BB0_4 Depth=1
	v_max_i32_e32 v0, -11, v48
	v_cmp_gt_i32_e32 vcc, -11, v48
	v_subb_co_u32_e64 v0, s[6:7], v0, v48, vcc
	v_mul_hi_u32 v0, v0, s23
	v_lshrrev_b32_e32 v0, 3, v0
	v_addc_co_u32_e32 v0, vcc, 0, v0, vcc
	v_mul_lo_u32 v39, v0, 12
	v_add3_u32 v48, v48, v39, 12
	v_xad_u32 v2, v0, -1, v2
	s_branch .LBB0_3
.LBB0_8:
	s_or_b64 exec, exec, s[10:11]
.LBB0_9:
	s_or_b64 exec, exec, s[8:9]
	buffer_load_dword v4, off, s[0:3], 0 offset:1032 ; 4-byte Folded Reload
	buffer_load_dword v5, off, s[0:3], 0 offset:1036 ; 4-byte Folded Reload
	s_load_dwordx8 s[24:31], s[4:5], 0x38
	s_waitcnt vmcnt(0)
	global_load_dwordx3 v[0:2], v[4:5], off offset:16
	global_load_dword v3, v[4:5], off offset:32
	s_waitcnt vmcnt(1)
	v_mad_u64_u32 v[4:5], s[4:5], v48, -6, v[0:1]
	v_cmp_lt_i32_e32 vcc, 12, v4
	s_waitcnt vmcnt(0)
	buffer_store_dword v3, off, s[0:3], 0 offset:1028 ; 4-byte Folded Spill
	s_and_saveexec_b64 s[4:5], vcc
; %bb.10:
	v_sub_u32_e64 v0, v4, 24 clamp
	v_add_u32_e32 v0, 11, v0
	s_mov_b32 s6, 0xaaaaaaab
	v_mul_hi_u32 v0, v0, s6
	v_lshrrev_b32_e32 v0, 3, v0
	v_mul_lo_u32 v3, v0, -12
	v_add3_u32 v4, v4, v3, -12
	v_add3_u32 v2, v2, v0, 1
; %bb.11:
	s_or_b64 exec, exec, s[4:5]
	v_cmp_gt_i32_e32 vcc, 1, v4
	s_and_saveexec_b64 s[6:7], vcc
; %bb.12:
	v_max_i32_e32 v0, -11, v4
	v_cmp_gt_i32_e32 vcc, -11, v4
	v_subb_co_u32_e64 v0, s[4:5], v0, v4, vcc
	s_mov_b32 s4, 0xaaaaaaab
	v_mul_hi_u32 v0, v0, s4
	v_lshrrev_b32_e32 v0, 3, v0
	v_addc_co_u32_e32 v0, vcc, 0, v0, vcc
	v_mul_lo_u32 v3, v0, 12
	v_add3_u32 v4, v4, v3, 12
	v_xad_u32 v2, v0, -1, v2
; %bb.13:
	s_or_b64 exec, exec, s[6:7]
	v_mov_b32_e32 v5, 1
	v_add_u32_e32 v0, 0xfffff894, v2
	buffer_store_dword v5, off, s[0:3], 0
	buffer_store_dword v5, off, s[0:3], 0 offset:4
	buffer_store_dword v5, off, s[0:3], 0 offset:8
	;; [unrolled: 1-line block ×29, first 2 shown]
	buffer_store_byte v5, off, s[0:3], 0 offset:120
	v_add_u32_e32 v6, 0, v0
	buffer_load_ubyte v7, v6, s[0:3], 0 offen
	v_mov_b32_e32 v3, 0
	v_mov_b32_e32 v13, 0x230
	;; [unrolled: 1-line block ×3, first 2 shown]
	v_lshl_add_u32 v12, v4, 2, -4
	v_mov_b32_e32 v8, 28
	v_mov_b32_e32 v9, 31
	;; [unrolled: 1-line block ×3, first 2 shown]
	buffer_store_dword v11, off, s[0:3], 0 offset:564
	buffer_store_dword v9, off, s[0:3], 0 offset:560
	buffer_store_dword v10, off, s[0:3], 0 offset:572
	buffer_store_dword v9, off, s[0:3], 0 offset:568
	buffer_store_dword v10, off, s[0:3], 0 offset:580
	buffer_store_dword v9, off, s[0:3], 0 offset:576
	buffer_store_dword v9, off, s[0:3], 0 offset:588
	buffer_store_dword v9, off, s[0:3], 0 offset:584
	buffer_store_dword v9, off, s[0:3], 0 offset:596
	buffer_store_dword v10, off, s[0:3], 0 offset:592
	buffer_store_dword v9, off, s[0:3], 0 offset:604
	buffer_store_dword v10, off, s[0:3], 0 offset:600
	buffer_store_dword v8, off, s[0:3], 0 offset:4
	buffer_store_dword v9, off, s[0:3], 0
	buffer_store_dword v10, off, s[0:3], 0 offset:12
	buffer_store_dword v9, off, s[0:3], 0 offset:8
	;; [unrolled: 1-line block ×10, first 2 shown]
	v_mov_b32_e32 v8, 59
	v_mov_b32_e32 v10, 0x97
	;; [unrolled: 1-line block ×27, first 2 shown]
	v_lshl_add_u32 v0, v0, 2, v3
	s_waitcnt vmcnt(24)
	v_and_b32_e32 v7, 1, v7
	v_cmp_eq_u32_e32 vcc, 1, v7
	v_cndmask_b32_e32 v7, v3, v13, vcc
	v_add_u32_e32 v7, v7, v12
	buffer_load_dword v47, v7, s[0:3], 0 offen
	s_nop 0
	buffer_store_dword v5, off, s[0:3], 0
	buffer_store_dword v5, off, s[0:3], 0 offset:4
	buffer_store_dword v5, off, s[0:3], 0 offset:8
	;; [unrolled: 1-line block ×29, first 2 shown]
	buffer_store_byte v5, off, s[0:3], 0 offset:120
	buffer_load_ubyte v5, v6, s[0:3], 0 offen
	v_mov_b32_e32 v6, 0
	v_mov_b32_e32 v7, 0x5a
	buffer_store_dword v9, off, s[0:3], 0 offset:564
	buffer_store_dword v6, off, s[0:3], 0 offset:560
	;; [unrolled: 1-line block ×14, first 2 shown]
	buffer_store_dword v6, off, s[0:3], 0
	buffer_store_dword v7, off, s[0:3], 0 offset:12
	buffer_store_dword v8, off, s[0:3], 0 offset:8
	buffer_store_dword v10, off, s[0:3], 0 offset:20
	buffer_store_dword v11, off, s[0:3], 0 offset:16
	buffer_store_dword v14, off, s[0:3], 0 offset:28
	buffer_store_dword v15, off, s[0:3], 0 offset:24
	buffer_store_dword v16, off, s[0:3], 0 offset:36
	buffer_store_dword v17, off, s[0:3], 0 offset:32
	buffer_store_dword v18, off, s[0:3], 0 offset:44
	buffer_store_dword v19, off, s[0:3], 0 offset:40
	buffer_store_dword v20, off, s[0:3], 0 offset:48
	s_waitcnt vmcnt(26)
	v_and_b32_e32 v5, 1, v5
	v_cmp_eq_u32_e32 vcc, 1, v5
	v_cndmask_b32_e32 v5, v3, v13, vcc
	v_add_u32_e32 v5, v5, v12
	buffer_load_dword v49, v5, s[0:3], 0 offen
	v_mov_b32_e32 v5, 0xcd8
	buffer_store_dword v31, off, s[0:3], 0 offset:4
	buffer_store_dword v6, off, s[0:3], 0
	buffer_store_dword v32, off, s[0:3], 0 offset:12
	buffer_store_dword v33, off, s[0:3], 0 offset:8
	;; [unrolled: 1-line block ×7, first 2 shown]
	v_mov_b32_e32 v5, 0xb6a
	buffer_store_dword v5, off, s[0:3], 0 offset:32
	v_mov_b32_e32 v5, 0xfb2
	buffer_store_dword v5, off, s[0:3], 0 offset:44
	;; [unrolled: 2-line block ×107, first 2 shown]
	v_mov_b32_e32 v5, 0xa6ef
	v_mov_b32_e32 v6, 0xa581
	buffer_store_dword v5, off, s[0:3], 0 offset:468
	buffer_store_dword v6, off, s[0:3], 0 offset:464
	;; [unrolled: 1-line block ×3, first 2 shown]
	v_mov_b32_e32 v5, 0xa85c
	buffer_store_dword v5, off, s[0:3], 0 offset:472
	v_mov_b32_e32 v5, 0xab36
	buffer_store_dword v5, off, s[0:3], 0 offset:480
	buffer_load_dword v50, v0, s[0:3], 0 offen
	v_add_u32_e32 v0, 6, v4
	v_cmp_lt_i32_e32 vcc, 12, v0
	v_mov_b32_e32 v5, v2
	s_and_saveexec_b64 s[4:5], vcc
; %bb.14:
	v_sub_u32_e64 v0, v0, 24 clamp
	v_add_u32_e32 v0, 11, v0
	s_mov_b32 s6, 0xaaaaaaab
	v_mul_hi_u32 v0, v0, s6
	v_lshrrev_b32_e32 v3, 3, v0
	v_mul_lo_u32 v0, v3, -12
	v_add3_u32 v0, v4, v0, -6
	v_add3_u32 v5, v2, v3, 1
; %bb.15:
	s_or_b64 exec, exec, s[4:5]
	v_cmp_gt_i32_e32 vcc, 1, v0
	s_and_saveexec_b64 s[6:7], vcc
; %bb.16:
	v_max_i32_e32 v3, -11, v0
	v_cmp_gt_i32_e32 vcc, -11, v0
	v_subb_co_u32_e64 v3, s[4:5], v3, v0, vcc
	s_mov_b32 s4, 0xaaaaaaab
	v_mul_hi_u32 v3, v3, s4
	v_lshrrev_b32_e32 v3, 3, v3
	v_addc_co_u32_e32 v3, vcc, 0, v3, vcc
	v_mul_lo_u32 v6, v3, 12
	v_add3_u32 v0, v0, v6, 12
	v_xad_u32 v5, v3, -1, v5
; %bb.17:
	s_or_b64 exec, exec, s[6:7]
	v_mov_b32_e32 v6, 1
	v_add_u32_e32 v46, 0xfffff894, v5
	buffer_store_dword v6, off, s[0:3], 0
	buffer_store_dword v6, off, s[0:3], 0 offset:4
	buffer_store_dword v6, off, s[0:3], 0 offset:8
	;; [unrolled: 1-line block ×29, first 2 shown]
	buffer_store_byte v6, off, s[0:3], 0 offset:120
	v_add_u32_e32 v3, 0, v46
	buffer_load_ubyte v8, v3, s[0:3], 0 offen
	v_mov_b32_e32 v7, 0
	v_mov_b32_e32 v16, 0x230
	;; [unrolled: 1-line block ×3, first 2 shown]
	v_lshl_add_u32 v9, v0, 2, -4
	v_mov_b32_e32 v10, 28
	v_mov_b32_e32 v13, 31
	;; [unrolled: 1-line block ×3, first 2 shown]
	buffer_store_dword v11, off, s[0:3], 0 offset:564
	buffer_store_dword v13, off, s[0:3], 0 offset:560
	buffer_store_dword v14, off, s[0:3], 0 offset:572
	buffer_store_dword v13, off, s[0:3], 0 offset:568
	buffer_store_dword v14, off, s[0:3], 0 offset:580
	buffer_store_dword v13, off, s[0:3], 0 offset:576
	buffer_store_dword v13, off, s[0:3], 0 offset:588
	buffer_store_dword v13, off, s[0:3], 0 offset:584
	buffer_store_dword v13, off, s[0:3], 0 offset:596
	buffer_store_dword v14, off, s[0:3], 0 offset:592
	buffer_store_dword v13, off, s[0:3], 0 offset:604
	buffer_store_dword v14, off, s[0:3], 0 offset:600
	buffer_store_dword v10, off, s[0:3], 0 offset:4
	buffer_store_dword v13, off, s[0:3], 0
	buffer_store_dword v14, off, s[0:3], 0 offset:12
	buffer_store_dword v13, off, s[0:3], 0 offset:8
	;; [unrolled: 1-line block ×10, first 2 shown]
	v_mov_b32_e32 v18, 0
	v_mov_b32_e32 v10, 59
	;; [unrolled: 1-line block ×71, first 2 shown]
	s_waitcnt vmcnt(24)
	v_and_b32_e32 v8, 1, v8
	v_cmp_eq_u32_e32 vcc, 1, v8
	v_cndmask_b32_e32 v8, v7, v16, vcc
	v_add_u32_e32 v8, v8, v9
	buffer_load_dword v51, v8, s[0:3], 0 offen
	s_nop 0
	buffer_store_dword v6, off, s[0:3], 0
	buffer_store_dword v6, off, s[0:3], 0 offset:4
	buffer_store_dword v6, off, s[0:3], 0 offset:8
	;; [unrolled: 1-line block ×29, first 2 shown]
	buffer_store_byte v6, off, s[0:3], 0 offset:120
	buffer_load_ubyte v3, v3, s[0:3], 0 offen
	v_mov_b32_e32 v8, 0x5a
	buffer_store_dword v13, off, s[0:3], 0 offset:564
	buffer_store_dword v18, off, s[0:3], 0 offset:560
	;; [unrolled: 1-line block ×14, first 2 shown]
	buffer_store_dword v18, off, s[0:3], 0
	buffer_store_dword v8, off, s[0:3], 0 offset:12
	buffer_store_dword v10, off, s[0:3], 0 offset:8
	;; [unrolled: 1-line block ×11, first 2 shown]
	v_mov_b32_e32 v100, 0x542e
	v_mov_b32_e32 v101, 0x52c1
	v_mov_b32_e32 v102, 0x5709
	v_mov_b32_e32 v103, 0x559b
	v_mov_b32_e32 v104, 0x59e3
	v_mov_b32_e32 v105, 0x5876
	v_mov_b32_e32 v106, 0x5cbe
	v_mov_b32_e32 v107, 0x5b50
	v_mov_b32_e32 v108, 0x5f98
	v_mov_b32_e32 v109, 0x5e2b
	v_mov_b32_e32 v110, 0x6273
	v_mov_b32_e32 v111, 0x6105
	v_mov_b32_e32 v112, 0x654d
	v_mov_b32_e32 v113, 0x63e0
	v_mov_b32_e32 v115, 0x6828
	v_mov_b32_e32 v116, 0x66ba
	v_mov_b32_e32 v117, 0x6b02
	v_mov_b32_e32 v118, 0x6995
	v_mov_b32_e32 v119, 0x6ddd
	v_mov_b32_e32 v120, 0x6c6f
	v_mov_b32_e32 v121, 0x70b7
	v_mov_b32_e32 v122, 0x6f4a
	v_mov_b32_e32 v123, 0x7392
	v_mov_b32_e32 v124, 0x7224
	v_mov_b32_e32 v125, 0x766c
	v_mov_b32_e32 v126, 0x74ff
	v_mov_b32_e32 v127, 0x7947
	v_mov_b32_e32 v10, 0x77d9
	v_mov_b32_e32 v11, 0x7c21
	v_mov_b32_e32 v17, 0x7efc
	v_mov_b32_e32 v67, 0x7d8e
	v_mov_b32_e32 v114, 0x81d6
	v_mov_b32_e32 v8, 0x8069
	v_mov_b32_e32 v12, 0x8343
	v_mov_b32_e32 v15, 0x878b
	v_mov_b32_e32 v19, 0x861e
	v_mov_b32_e32 v20, 0x8a66
	v_mov_b32_e32 v21, 0x88f8
	v_mov_b32_e32 v22, 0x8d40
	v_mov_b32_e32 v23, 0x8bd3
	v_mov_b32_e32 v26, 0x901b
	v_mov_b32_e32 v27, 0x8ead
	v_mov_b32_e32 v28, 0x92f5
	v_mov_b32_e32 v29, 0x9188
	v_mov_b32_e32 v30, 0x95d0
	v_mov_b32_e32 v31, 0x9462
	v_mov_b32_e32 v32, 0x98aa
	v_mov_b32_e32 v33, 0x973d
	v_mov_b32_e32 v40, 0xa414
	v_mov_b32_e32 v41, 0xa2a7
	v_mov_b32_e32 v25, 0xa6ef
	v_mov_b32_e32 v43, 0xa581
	v_mov_b32_e32 v44, 0xa85c
	v_mov_b32_e32 v45, 0xab36
	v_lshl_add_u32 v46, v46, 2, v7
	s_waitcnt vmcnt(26)
	v_and_b32_e32 v3, 1, v3
	v_cmp_eq_u32_e32 vcc, 1, v3
	v_cndmask_b32_e32 v3, v7, v16, vcc
	v_add_u32_e32 v3, v3, v9
	buffer_load_dword v24, v3, s[0:3], 0 offen
	v_mov_b32_e32 v3, 0xcd8
	buffer_store_dword v42, off, s[0:3], 0 offset:4
	buffer_store_dword v18, off, s[0:3], 0
	buffer_store_dword v34, off, s[0:3], 0 offset:12
	buffer_store_dword v35, off, s[0:3], 0 offset:8
	;; [unrolled: 1-line block ×7, first 2 shown]
	v_mov_b32_e32 v3, 0xb6a
	buffer_store_dword v3, off, s[0:3], 0 offset:32
	v_mov_b32_e32 v3, 0xfb2
	buffer_store_dword v3, off, s[0:3], 0 offset:44
	v_mov_b32_e32 v3, 0xe45
	buffer_store_dword v3, off, s[0:3], 0 offset:40
	v_mov_b32_e32 v3, 0x128d
	buffer_store_dword v3, off, s[0:3], 0 offset:52
	v_mov_b32_e32 v3, 0x111f
	buffer_store_dword v3, off, s[0:3], 0 offset:48
	v_mov_b32_e32 v3, 0x1567
	buffer_store_dword v3, off, s[0:3], 0 offset:60
	v_mov_b32_e32 v3, 0x7ab4
	v_mov_b32_e32 v9, 0x84b1
	v_mov_b32_e32 v34, 0x9b85
	v_mov_b32_e32 v35, 0x9a17
	v_mov_b32_e32 v36, 0x9e5f
	v_mov_b32_e32 v37, 0x9cf2
	v_mov_b32_e32 v38, 0xa13a
	v_mov_b32_e32 v39, 0x9fcc
	buffer_store_dword v56, off, s[0:3], 0 offset:56
	buffer_store_dword v57, off, s[0:3], 0 offset:68
	;; [unrolled: 1-line block ×106, first 2 shown]
	buffer_load_dword v46, v46, s[0:3], 0 offen
	v_cmp_ne_u32_e32 vcc, 0, v48
	s_and_saveexec_b64 s[6:7], vcc
	s_cbranch_execz .LBB0_24
; %bb.18:
	v_min_i32_e32 v54, v47, v1
	v_min_i32_e32 v1, v51, v54
	v_add3_u32 v49, v49, v54, v50
	s_waitcnt vmcnt(0)
	v_add3_u32 v51, v24, v1, v46
	s_mov_b64 s[8:9], 0
	v_mov_b32_e32 v46, -1.0
	s_mov_b32 s12, 0xaaaaaaab
	v_mov_b32_e32 v47, 0x1f0
	v_mov_b32_e32 v24, v48
	s_branch .LBB0_20
.LBB0_19:                               ;   in Loop: Header=BB0_20 Depth=1
	s_or_b64 exec, exec, s[10:11]
	v_add_u32_e32 v1, 0xfffff894, v5
	buffer_store_dword v6, off, s[0:3], 0
	buffer_store_dword v6, off, s[0:3], 0 offset:4
	buffer_store_dword v6, off, s[0:3], 0 offset:8
	buffer_store_dword v6, off, s[0:3], 0 offset:12
	buffer_store_dword v6, off, s[0:3], 0 offset:16
	buffer_store_dword v6, off, s[0:3], 0 offset:20
	buffer_store_dword v6, off, s[0:3], 0 offset:24
	buffer_store_dword v6, off, s[0:3], 0 offset:28
	buffer_store_dword v6, off, s[0:3], 0 offset:32
	buffer_store_dword v6, off, s[0:3], 0 offset:36
	buffer_store_dword v6, off, s[0:3], 0 offset:40
	buffer_store_dword v6, off, s[0:3], 0 offset:44
	buffer_store_dword v6, off, s[0:3], 0 offset:48
	buffer_store_dword v6, off, s[0:3], 0 offset:52
	buffer_store_dword v6, off, s[0:3], 0 offset:56
	buffer_store_dword v6, off, s[0:3], 0 offset:60
	buffer_store_dword v6, off, s[0:3], 0 offset:64
	buffer_store_dword v6, off, s[0:3], 0 offset:68
	buffer_store_dword v6, off, s[0:3], 0 offset:72
	buffer_store_dword v6, off, s[0:3], 0 offset:76
	buffer_store_dword v6, off, s[0:3], 0 offset:80
	buffer_store_dword v6, off, s[0:3], 0 offset:84
	buffer_store_dword v6, off, s[0:3], 0 offset:88
	buffer_store_dword v6, off, s[0:3], 0 offset:92
	buffer_store_dword v6, off, s[0:3], 0 offset:96
	buffer_store_dword v6, off, s[0:3], 0 offset:100
	buffer_store_dword v6, off, s[0:3], 0 offset:104
	buffer_store_dword v6, off, s[0:3], 0 offset:108
	buffer_store_dword v6, off, s[0:3], 0 offset:112
	buffer_store_dword v6, off, s[0:3], 0 offset:116
	buffer_store_byte v6, off, s[0:3], 0 offset:120
	v_add_u32_e32 v49, 0, v1
	buffer_load_ubyte v50, v49, s[0:3], 0 offen
	v_lshl_add_u32 v1, v1, 2, v7
	v_add_u32_e32 v24, -1, v24
	v_add_u32_e32 v16, 52, v16
	s_waitcnt vmcnt(0)
	v_and_b32_e32 v50, 1, v50
	v_cmp_eq_u32_e32 vcc, 1, v50
	v_mov_b32_e32 v50, 29
	buffer_store_dword v50, off, s[0:3], 0 offset:500
	buffer_store_dword v13, off, s[0:3], 0 offset:496
	;; [unrolled: 1-line block ×12, first 2 shown]
	v_mov_b32_e32 v50, 28
	buffer_store_dword v50, off, s[0:3], 0 offset:4
	buffer_store_dword v13, off, s[0:3], 0
	buffer_store_dword v14, off, s[0:3], 0 offset:12
	buffer_store_dword v13, off, s[0:3], 0 offset:8
	;; [unrolled: 1-line block ×10, first 2 shown]
	v_lshl_add_u32 v50, v0, 2, -4
	v_cndmask_b32_e32 v51, v7, v47, vcc
	v_add_u32_e32 v51, v51, v50
	buffer_load_dword v51, v51, s[0:3], 0 offen
	s_nop 0
	buffer_store_dword v6, off, s[0:3], 0
	buffer_store_dword v6, off, s[0:3], 0 offset:4
	buffer_store_dword v6, off, s[0:3], 0 offset:8
	buffer_store_dword v6, off, s[0:3], 0 offset:12
	buffer_store_dword v6, off, s[0:3], 0 offset:16
	buffer_store_dword v6, off, s[0:3], 0 offset:20
	buffer_store_dword v6, off, s[0:3], 0 offset:24
	buffer_store_dword v6, off, s[0:3], 0 offset:28
	buffer_store_dword v6, off, s[0:3], 0 offset:32
	buffer_store_dword v6, off, s[0:3], 0 offset:36
	buffer_store_dword v6, off, s[0:3], 0 offset:40
	buffer_store_dword v6, off, s[0:3], 0 offset:44
	buffer_store_dword v6, off, s[0:3], 0 offset:48
	buffer_store_dword v6, off, s[0:3], 0 offset:52
	buffer_store_dword v6, off, s[0:3], 0 offset:56
	buffer_store_dword v6, off, s[0:3], 0 offset:60
	buffer_store_dword v6, off, s[0:3], 0 offset:64
	buffer_store_dword v6, off, s[0:3], 0 offset:68
	buffer_store_dword v6, off, s[0:3], 0 offset:72
	buffer_store_dword v6, off, s[0:3], 0 offset:76
	buffer_store_dword v6, off, s[0:3], 0 offset:80
	buffer_store_dword v6, off, s[0:3], 0 offset:84
	buffer_store_dword v6, off, s[0:3], 0 offset:88
	buffer_store_dword v6, off, s[0:3], 0 offset:92
	buffer_store_dword v6, off, s[0:3], 0 offset:96
	buffer_store_dword v6, off, s[0:3], 0 offset:100
	buffer_store_dword v6, off, s[0:3], 0 offset:104
	buffer_store_dword v6, off, s[0:3], 0 offset:108
	buffer_store_dword v6, off, s[0:3], 0 offset:112
	buffer_store_dword v6, off, s[0:3], 0 offset:116
	buffer_store_byte v6, off, s[0:3], 0 offset:120
	buffer_load_ubyte v49, v49, s[0:3], 0 offen
	s_nop 0
	buffer_store_dword v13, off, s[0:3], 0 offset:500
	buffer_store_dword v18, off, s[0:3], 0 offset:496
	s_waitcnt vmcnt(2)
	v_and_b32_e32 v49, 1, v49
	v_cmp_eq_u32_e32 vcc, 1, v49
	v_cndmask_b32_e32 v49, v7, v47, vcc
	v_add_u32_e32 v49, v49, v50
	v_mov_b32_e32 v50, 0x5b
	buffer_store_dword v50, off, s[0:3], 0 offset:508
	v_mov_b32_e32 v50, 60
	buffer_store_dword v50, off, s[0:3], 0 offset:504
	;; [unrolled: 2-line block ×10, first 2 shown]
	buffer_store_dword v42, off, s[0:3], 0 offset:544
	buffer_store_dword v13, off, s[0:3], 0 offset:4
	buffer_store_dword v18, off, s[0:3], 0
	v_mov_b32_e32 v50, 0x5a
	buffer_store_dword v50, off, s[0:3], 0 offset:12
	v_mov_b32_e32 v50, 59
	buffer_store_dword v50, off, s[0:3], 0 offset:8
	;; [unrolled: 2-line block ×11, first 2 shown]
	v_mov_b32_e32 v50, 0x448
	buffer_load_dword v49, v49, s[0:3], 0 offen
	s_nop 0
	buffer_store_dword v42, off, s[0:3], 0 offset:4
	buffer_store_dword v18, off, s[0:3], 0
	buffer_store_dword v50, off, s[0:3], 0 offset:12
	v_mov_b32_e32 v50, 0x2db
	buffer_store_dword v50, off, s[0:3], 0 offset:8
	v_mov_b32_e32 v50, 0x723
	;; [unrolled: 2-line block ×12, first 2 shown]
	buffer_store_dword v50, off, s[0:3], 0 offset:60
	buffer_store_dword v56, off, s[0:3], 0 offset:56
	;; [unrolled: 1-line block ×107, first 2 shown]
	buffer_load_dword v50, v1, s[0:3], 0 offen
	v_min_i32_e32 v1, v51, v54
	v_cmp_eq_u32_e32 vcc, 0, v24
	s_or_b64 s[8:9], vcc, s[8:9]
	s_waitcnt vmcnt(0)
	v_add3_u32 v51, v49, v1, v50
	v_mov_b32_e32 v49, v52
	s_andn2_b64 exec, exec, s[8:9]
	s_cbranch_execz .LBB0_24
.LBB0_20:                               ; =>This Inner Loop Header: Depth=1
	v_mov_b32_e32 v55, v4
	v_mov_b32_e32 v4, v0
	;; [unrolled: 1-line block ×4, first 2 shown]
	buffer_store_dword v1, v16, s[0:3], 0 offen offset:4
	buffer_store_dword v0, v16, s[0:3], 0 offen
	buffer_store_dword v51, v16, s[0:3], 0 offen offset:12
	buffer_store_dword v5, v16, s[0:3], 0 offen offset:8
	;; [unrolled: 1-line block ×11, first 2 shown]
	v_add_u32_e32 v0, 6, v4
	v_mov_b32_e32 v52, v51
	v_mov_b32_e32 v2, v5
	;; [unrolled: 1-line block ×3, first 2 shown]
	v_cmp_lt_i32_e32 vcc, 12, v0
	s_and_saveexec_b64 s[4:5], vcc
; %bb.21:                               ;   in Loop: Header=BB0_20 Depth=1
	v_sub_u32_e64 v0, v0, 24 clamp
	v_add_u32_e32 v0, 11, v0
	v_mul_hi_u32 v0, v0, s12
	v_lshrrev_b32_e32 v1, 3, v0
	v_mul_lo_u32 v0, v1, -12
	v_add3_u32 v0, v4, v0, -6
	v_add3_u32 v5, v2, v1, 1
; %bb.22:                               ;   in Loop: Header=BB0_20 Depth=1
	s_or_b64 exec, exec, s[4:5]
	v_cmp_gt_i32_e32 vcc, 1, v0
	s_and_saveexec_b64 s[10:11], vcc
	s_cbranch_execz .LBB0_19
; %bb.23:                               ;   in Loop: Header=BB0_20 Depth=1
	v_max_i32_e32 v1, -11, v0
	v_cmp_gt_i32_e32 vcc, -11, v0
	v_subb_co_u32_e64 v1, s[4:5], v1, v0, vcc
	v_mul_hi_u32 v1, v1, s12
	v_lshrrev_b32_e32 v1, 3, v1
	v_addc_co_u32_e32 v1, vcc, 0, v1, vcc
	v_mul_lo_u32 v49, v1, 12
	v_add3_u32 v0, v0, v49, 12
	v_xad_u32 v5, v1, -1, v5
	s_branch .LBB0_19
.LBB0_24:
	s_or_b64 exec, exec, s[6:7]
	buffer_load_dword v10, off, s[0:3], 0 offset:1032 ; 4-byte Folded Reload
	buffer_load_dword v11, off, s[0:3], 0 offset:1036 ; 4-byte Folded Reload
	v_mov_b32_e32 v0, s17
	v_mov_b32_e32 v18, 0x230
	s_waitcnt vmcnt(0)
	global_load_dwordx4 v[4:7], v[10:11], off offset:16
	buffer_load_dword v8, off, s[0:3], 0 offset:1040 ; 4-byte Folded Reload
	buffer_load_dword v9, off, s[0:3], 0 offset:1044 ; 4-byte Folded Reload
	s_waitcnt vmcnt(0)
	v_lshlrev_b64 v[14:15], 4, v[8:9]
	v_add_co_u32_e32 v16, vcc, s16, v14
	v_addc_co_u32_e32 v17, vcc, v0, v15, vcc
	v_lshlrev_b64 v[12:13], 2, v[8:9]
	v_mov_b32_e32 v9, s21
	global_load_dword v8, v[10:11], off offset:12
	v_add_co_u32_e32 v10, vcc, s20, v12
	global_load_dwordx4 v[0:3], v[16:17], off
	v_addc_co_u32_e32 v11, vcc, v9, v13, vcc
	global_load_dword v22, v[10:11], off
	v_mov_b32_e32 v9, 0x42c80000
	v_mad_u64_u32 v[10:11], s[4:5], v48, 52, v[18:19]
	buffer_store_dword v9, v10, s[0:3], 0 offen offset:48
	buffer_store_dword v7, v10, s[0:3], 0 offen offset:12
	;; [unrolled: 1-line block ×4, first 2 shown]
	buffer_store_dword v4, v10, s[0:3], 0 offen
	s_waitcnt vmcnt(6)
	buffer_store_dword v3, v10, s[0:3], 0 offen offset:28
	buffer_store_dword v2, v10, s[0:3], 0 offen offset:24
	buffer_store_dword v1, v10, s[0:3], 0 offen offset:20
	buffer_store_dword v0, v10, s[0:3], 0 offen offset:16
	buffer_store_dword v3, v10, s[0:3], 0 offen offset:44
	buffer_store_dword v2, v10, s[0:3], 0 offen offset:40
	buffer_store_dword v1, v10, s[0:3], 0 offen offset:36
	buffer_store_dword v0, v10, s[0:3], 0 offen offset:32
	v_cmp_gt_i32_e32 vcc, v8, v3
	v_mov_b32_e32 v6, v2
	v_mov_b32_e32 v7, v3
	v_pk_mov_b32 v[4:5], v[0:1], v[0:1] op_sel:[0,1]
	s_and_saveexec_b64 s[4:5], vcc
	s_cbranch_execz .LBB0_26
; %bb.25:
	buffer_load_dword v4, off, s[0:3], 0 offset:1032 ; 4-byte Folded Reload
	buffer_load_dword v5, off, s[0:3], 0 offset:1036 ; 4-byte Folded Reload
	v_mov_b32_e32 v7, v8
	s_waitcnt vmcnt(0)
	global_load_dwordx3 v[4:6], v[4:5], off
.LBB0_26:
	s_or_b64 exec, exec, s[4:5]
	v_add_u32_e32 v26, 1, v48
	s_mov_b32 s10, 0
	s_mov_b32 s11, 12
	s_mov_b64 s[4:5], 0
                                        ; implicit-def: $sgpr6_sgpr7
	s_branch .LBB0_28
.LBB0_27:                               ;   in Loop: Header=BB0_28 Depth=1
	s_or_b64 exec, exec, s[8:9]
	s_and_b64 s[8:9], exec, s[6:7]
	s_or_b64 s[4:5], s[8:9], s[4:5]
	s_andn2_b64 exec, exec, s[4:5]
	s_cbranch_execz .LBB0_30
.LBB0_28:                               ; =>This Inner Loop Header: Depth=1
	v_add_u32_e32 v8, s11, v18
	buffer_load_dword v8, v8, s[0:3], 0 offen
	v_mov_b32_e32 v9, s10
	s_or_b64 s[6:7], s[6:7], exec
	s_waitcnt vmcnt(0)
	v_cmp_lt_i32_e32 vcc, v8, v7
	s_and_saveexec_b64 s[8:9], vcc
	s_cbranch_execz .LBB0_27
; %bb.29:                               ;   in Loop: Header=BB0_28 Depth=1
	s_add_i32 s10, s10, 1
	v_cmp_eq_u32_e32 vcc, s10, v26
	s_andn2_b64 s[6:7], s[6:7], exec
	s_and_b64 s[12:13], vcc, exec
	s_add_i32 s11, s11, 52
	s_or_b64 s[6:7], s[6:7], s[12:13]
	v_mov_b32_e32 v9, v48
	s_branch .LBB0_27
.LBB0_30:
	s_or_b64 exec, exec, s[4:5]
	v_cmp_le_u32_e32 vcc, v9, v48
                                        ; implicit-def: $vgpr23
	s_and_saveexec_b64 s[4:5], vcc
	s_xor_b64 s[6:7], exec, s[4:5]
	s_cbranch_execz .LBB0_38
; %bb.31:
	v_mov_b32_e32 v8, s19
	v_add_co_u32_e32 v10, vcc, s18, v14
	v_addc_co_u32_e32 v8, vcc, v8, v15, vcc
	v_add_co_u32_e32 v18, vcc, 12, v10
	v_addc_co_u32_e32 v19, vcc, 0, v8, vcc
	v_mul_lo_u32 v8, v9, 52
	v_mov_b32_e32 v10, 0x230
	v_add3_u32 v8, v8, v10, 16
	v_add_u32_e32 v10, -1, v9
	s_mov_b64 s[8:9], 0
	v_mov_b32_e32 v9, 0
	s_movk_i32 s16, 0x168
	s_mov_b32 s17, 0x43b40000
	s_branch .LBB0_34
.LBB0_32:                               ;   in Loop: Header=BB0_34 Depth=1
	s_or_b64 exec, exec, s[12:13]
.LBB0_33:                               ;   in Loop: Header=BB0_34 Depth=1
	s_or_b64 exec, exec, s[10:11]
	v_add_u32_e32 v10, 1, v10
	v_cmp_ge_u32_e32 vcc, v10, v48
	v_add_f32_e32 v9, v9, v11
	s_or_b64 s[8:9], vcc, s[8:9]
	v_add_u32_e32 v8, 52, v8
	s_andn2_b64 exec, exec, s[8:9]
	s_cbranch_execz .LBB0_37
.LBB0_34:                               ; =>This Inner Loop Header: Depth=1
	buffer_load_dword v11, v8, s[0:3], 0 offen offset:12
	s_waitcnt vmcnt(0)
	v_cmp_lt_i32_e32 vcc, v11, v7
	v_mov_b32_e32 v11, 0
	s_and_saveexec_b64 s[10:11], vcc
	s_cbranch_execz .LBB0_33
; %bb.35:                               ;   in Loop: Header=BB0_34 Depth=1
	global_load_dword v11, v[18:19], off
	s_waitcnt vmcnt(0)
	v_cmp_ge_i32_e32 vcc, v11, v7
	v_mov_b32_e32 v11, 0
	s_and_saveexec_b64 s[12:13], vcc
	s_cbranch_execz .LBB0_32
; %bb.36:                               ;   in Loop: Header=BB0_34 Depth=1
	buffer_load_dword v11, v8, s[0:3], 0 offen offset:28
	buffer_load_dword v20, v8, s[0:3], 0 offen offset:16
	;; [unrolled: 1-line block ×3, first 2 shown]
	buffer_load_dword v23, v8, s[0:3], 0 offen
	buffer_load_dword v24, v8, s[0:3], 0 offen offset:20
	buffer_load_dword v25, v8, s[0:3], 0 offen offset:24
	;; [unrolled: 1-line block ×3, first 2 shown]
	s_waitcnt vmcnt(6)
	v_cmp_gt_i32_e32 vcc, v11, v7
	s_waitcnt vmcnt(5)
	v_cndmask_b32_e32 v11, v20, v4, vcc
	s_waitcnt vmcnt(4)
	v_cmp_gt_i32_e64 s[4:5], 30, v21
	v_sub_u32_e32 v20, 30, v21
	s_waitcnt vmcnt(2)
	v_cndmask_b32_e32 v21, v24, v5, vcc
	s_waitcnt vmcnt(1)
	v_cndmask_b32_e32 v24, v25, v6, vcc
	v_cmp_eq_u32_e32 vcc, 31, v21
	v_not_b32_e32 v23, v23
	v_max_i32_e32 v20, 0, v20
	v_min_i32_e32 v25, 30, v21
	s_waitcnt vmcnt(0)
	v_sub_u32_e32 v21, v24, v27
	s_and_b64 vcc, vcc, s[4:5]
	v_addc_co_u32_e64 v11, s[4:5], v11, v23, vcc
	v_mad_u64_u32 v[20:21], s[4:5], v21, s16, v[20:21]
	v_mul_lo_u32 v11, v11, 30
	v_cndmask_b32_e64 v21, v25, 1, vcc
	v_add3_u32 v11, v20, v21, v11
	v_cvt_f32_i32_e32 v11, v11
	v_div_scale_f32 v20, s[4:5], s17, s17, v11
	v_rcp_f32_e32 v21, v20
	v_div_scale_f32 v23, vcc, v11, s17, v11
	v_fma_f32 v24, -v20, v21, 1.0
	v_fmac_f32_e32 v21, v24, v21
	v_mul_f32_e32 v24, v23, v21
	v_fma_f32 v25, -v20, v24, v23
	v_fmac_f32_e32 v24, v25, v21
	v_fma_f32 v20, -v20, v24, v23
	v_div_fmas_f32 v20, v20, v21, v24
	v_div_fixup_f32 v11, v20, s17, v11
	buffer_load_dword v20, off, s[0:3], 0 offset:1028 ; 4-byte Folded Reload
	s_waitcnt vmcnt(0)
	v_fma_f32 v11, v20, v11, 1.0
	v_add_f32_e32 v11, -1.0, v11
	v_mul_f32_e32 v11, 0x42c80000, v11
	s_branch .LBB0_32
.LBB0_37:
	s_or_b64 exec, exec, s[8:9]
	v_mul_f32_e32 v23, 0x42c80000, v9
.LBB0_38:
	s_andn2_saveexec_b64 s[4:5], s[6:7]
; %bb.39:
	v_mov_b32_e32 v23, 0
; %bb.40:
	s_or_b64 exec, exec, s[4:5]
	v_not_b32_e32 v27, v4
	v_sub_u32_e32 v4, 30, v5
	v_cmp_gt_i32_e64 s[4:5], 30, v5
	v_max_i32_e32 v4, 0, v4
	v_mov_b32_e32 v5, 0x230
	s_mov_b64 s[8:9], -1
	s_mov_b32 s20, -1
	s_mov_b64 s[10:11], 0
	v_mov_b32_e32 v8, 0
	v_mov_b32_e32 v9, 1.0
	s_movk_i32 s21, 0x168
	s_mov_b32 s22, 0x43b40000
	s_mov_b32 s23, 0x3f2aaaab
	v_mov_b32_e32 v10, 0x3ecccdef
	s_mov_b32 s33, 0x3f317218
	s_movk_i32 s34, 0x204
	s_mov_b32 s35, 0x7f800000
	s_mov_b32 s36, 0x42b17218
	;; [unrolled: 1-line block ×4, first 2 shown]
	v_mov_b32_e32 v11, 0x3f833333
	v_mov_b32_e32 v28, 0x37000000
	;; [unrolled: 1-line block ×3, first 2 shown]
                                        ; implicit-def: $vgpr30
                                        ; implicit-def: $vgpr20_vgpr21
	s_branch .LBB0_43
.LBB0_41:                               ;   in Loop: Header=BB0_43 Depth=1
	s_or_b64 exec, exec, s[6:7]
	v_cvt_f32_i32_e32 v20, v32
	s_andn2_b64 s[8:9], s[8:9], exec
	v_div_scale_f32 v21, s[6:7], s22, s22, v20
	v_rcp_f32_e32 v30, v21
	v_div_scale_f32 v31, vcc, v20, s22, v20
	v_fma_f32 v32, -v21, v30, 1.0
	v_fmac_f32_e32 v30, v32, v30
	v_mul_f32_e32 v32, v31, v30
	v_fma_f32 v33, -v21, v32, v31
	v_fmac_f32_e32 v32, v33, v30
	v_fma_f32 v21, -v21, v32, v31
	v_div_fmas_f32 v21, v21, v30, v32
	v_div_fixup_f32 v20, v21, s22, v20
	v_add_f32_e32 v44, v20, v20
	v_cmp_eq_f32_e32 vcc, 0, v44
	v_cndmask_b32_e64 v38, v11, 1.0, vcc
	v_frexp_mant_f32_e32 v20, v38
	v_cmp_gt_f32_e64 s[6:7], s23, v20
	v_cndmask_b32_e64 v21, 1.0, 2.0, s[6:7]
	v_mul_f32_e32 v20, v20, v21
	v_add_f32_e32 v31, 1.0, v20
	v_rcp_f32_e32 v36, v31
	v_add_f32_e32 v21, -1.0, v20
	v_add_f32_e32 v30, -1.0, v31
	v_sub_f32_e32 v20, v20, v30
	v_mul_f32_e32 v37, v21, v36
	v_mul_f32_e32 v30, v31, v37
	v_fma_f32 v32, v37, v31, -v30
	v_fmac_f32_e32 v32, v37, v20
	v_add_f32_e32 v20, v30, v32
	v_sub_f32_e32 v31, v21, v20
	v_pk_add_f32 v[34:35], v[20:21], v[30:31] neg_lo:[0,1] neg_hi:[0,1]
	v_mov_b32_e32 v33, v20
	v_pk_add_f32 v[20:21], v[34:35], v[32:33] neg_lo:[0,1] neg_hi:[0,1]
	v_add_f32_e32 v20, v20, v21
	v_add_f32_e32 v20, v31, v20
	v_mul_f32_e32 v21, v36, v20
	v_add_f32_e32 v20, v37, v21
	v_sub_f32_e32 v30, v20, v37
	v_sub_f32_e32 v39, v21, v30
	v_mul_f32_e32 v21, v20, v20
	v_fma_f32 v31, v20, v20, -v21
	v_add_f32_e32 v30, v39, v39
	v_fmac_f32_e32 v31, v20, v30
	v_add_f32_e32 v30, v21, v31
	v_mov_b32_e32 v32, 0x3e91f4c4
	v_fmac_f32_e32 v32, 0x3e76c4e1, v30
	v_fma_f32 v32, v30, v32, v10
	v_sub_f32_e32 v21, v30, v21
	v_sub_f32_e32 v40, v31, v21
	v_mul_f32_e32 v21, v30, v32
	v_fma_f32 v31, v30, v32, -v21
	v_fmac_f32_e32 v31, v40, v32
	v_add_f32_e32 v32, v21, v31
	v_add_f32_e32 v33, 0x3f2aaaaa, v32
	v_sub_f32_e32 v21, v32, v21
	v_sub_f32_e32 v21, v31, v21
	v_add_f32_e32 v31, 0xbf2aaaaa, v33
	v_add_f32_e32 v21, 0x31739010, v21
	v_sub_f32_e32 v31, v32, v31
	v_pk_mul_f32 v[34:35], v[20:21], v[30:31]
	v_fma_f32 v32, v30, v20, -v34
	v_pk_add_f32 v[36:37], v[20:21], v[30:31]
	v_fmac_f32_e32 v32, v30, v39
	v_mov_b32_e32 v35, v37
	v_fmac_f32_e32 v32, v40, v20
	v_pk_add_f32 v[30:31], v[34:35], v[32:33]
	v_sub_f32_e32 v21, v30, v34
	v_sub_f32_e32 v21, v32, v21
	v_sub_f32_e32 v32, v33, v31
	v_add_f32_e32 v36, v37, v32
	v_mov_b32_e32 v32, v31
	v_pk_mul_f32 v[32:33], v[30:31], v[32:33]
	v_cvt_f64_f32_e32 v[34:35], v38
	v_frexp_exp_i32_f64_e32 v33, v[34:35]
	v_subbrev_co_u32_e64 v33, s[6:7], 0, v33, s[6:7]
	v_cvt_f32_i32_e32 v33, v33
	v_fma_f32 v34, v30, v31, -v32
	v_fmac_f32_e32 v34, v30, v36
	v_fmac_f32_e32 v34, v21, v31
	v_mul_f32_e32 v30, 0x3f317218, v33
	v_fma_f32 v36, v33, s33, -v30
	v_fmac_f32_e32 v36, 0xb102e308, v33
	v_ldexp_f32 v37, v20, 1
	v_add_f32_e32 v31, v32, v34
	v_pk_add_f32 v[20:21], v[30:31], v[36:37]
	v_ldexp_f32 v40, v39, 1
	v_mov_b32_e32 v38, v31
	v_mov_b32_e32 v39, v21
	;; [unrolled: 1-line block ×3, first 2 shown]
	v_pk_add_f32 v[32:33], v[38:39], v[32:33] neg_lo:[0,1] neg_hi:[0,1]
	v_mov_b32_e32 v35, v31
	v_pk_add_f32 v[32:33], v[34:35], v[32:33] neg_lo:[0,1] neg_hi:[0,1]
	v_add_f32_e32 v31, v40, v32
	v_add_f32_e32 v31, v31, v33
	v_pk_add_f32 v[32:33], v[20:21], v[30:31] neg_lo:[0,1] neg_hi:[0,1]
	v_pk_add_f32 v[34:35], v[20:21], v[30:31]
	v_mov_b32_e32 v38, v32
	v_mov_b32_e32 v39, v35
	v_mov_b32_e32 v37, v20
	v_pk_add_f32 v[38:39], v[36:37], v[38:39]
	v_mov_b32_e32 v30, v39
	v_pk_add_f32 v[40:41], v[30:31], v[20:21] neg_lo:[0,1] neg_hi:[0,1]
	v_mov_b32_e32 v41, v40
	v_mov_b32_e32 v38, v35
	v_mov_b32_e32 v20, v21
	v_mov_b32_e32 v21, v40
	v_pk_add_f32 v[32:33], v[36:37], v[32:33] neg_lo:[0,1] neg_hi:[0,1]
	v_pk_add_f32 v[42:43], v[34:35], v[40:41] neg_lo:[0,1] neg_hi:[0,1]
	;; [unrolled: 1-line block ×3, first 2 shown]
	v_mov_b32_e32 v36, v31
	v_pk_add_f32 v[20:21], v[36:37], v[20:21] neg_lo:[0,1] neg_hi:[0,1]
	v_mov_b32_e32 v42, v32
	v_pk_add_f32 v[34:35], v[42:43], v[20:21]
	v_mov_b32_e32 v36, v35
	v_pk_add_f32 v[36:37], v[34:35], v[36:37]
	v_pk_add_f32 v[30:31], v[30:31], v[36:37]
	v_mov_b32_e32 v33, v39
	v_mov_b32_e32 v35, v30
	v_pk_add_f32 v[38:39], v[34:35], v[32:33] neg_lo:[0,1] neg_hi:[0,1]
	v_mov_b32_e32 v21, v36
	v_sub_f32_e32 v31, v34, v38
	v_pk_add_f32 v[20:21], v[20:21], v[38:39] neg_lo:[0,1] neg_hi:[0,1]
	v_sub_f32_e32 v31, v32, v31
	v_add_f32_e32 v20, v20, v31
	v_add_f32_e32 v20, v20, v21
	v_add_f32_e32 v21, v30, v20
	v_sub_f32_e32 v30, v21, v30
	v_sub_f32_e32 v20, v20, v30
	v_mul_f32_e32 v30, v44, v21
	v_fma_f32 v21, v44, v21, -v30
	v_fmac_f32_e32 v21, v44, v20
	v_add_f32_e32 v20, v30, v21
	v_cmp_class_f32_e64 s[6:7], v30, s34
	v_sub_f32_e32 v31, v20, v30
	v_cndmask_b32_e64 v20, v20, v30, s[6:7]
	v_cmp_eq_f32_e64 s[6:7], s36, v20
	v_cndmask_b32_e64 v30, 0, v28, s[6:7]
	v_sub_f32_e32 v21, v21, v31
	v_sub_f32_e32 v31, v20, v30
	v_mul_f32_e32 v32, 0x3fb8aa3b, v31
	v_fma_f32 v33, v31, s37, -v32
	v_rndne_f32_e32 v34, v32
	v_fmac_f32_e32 v33, 0x32a5705f, v31
	v_sub_f32_e32 v32, v32, v34
	v_add_f32_e32 v32, v32, v33
	v_exp_f32_e32 v32, v32
	v_cvt_i32_f32_e32 v33, v34
	v_cmp_neq_f32_e64 s[6:7], |v20|, s35
	v_cndmask_b32_e64 v20, 0, v21, s[6:7]
	v_cmp_ngt_f32_e64 s[6:7], s38, v31
	v_ldexp_f32 v21, v32, v33
	v_cndmask_b32_e64 v21, 0, v21, s[6:7]
	v_cmp_nlt_f32_e64 s[6:7], s36, v31
	v_add_f32_e32 v20, v30, v20
	v_cndmask_b32_e64 v21, v29, v21, s[6:7]
	v_fma_f32 v20, v21, v20, v21
	v_cmp_class_f32_e64 s[6:7], v21, s34
	v_cndmask_b32_e64 v20, v20, v21, s[6:7]
	v_cmp_eq_f32_e64 s[6:7], v44, |v44|
	v_cndmask_b32_e64 v21, 0, |v44|, s[6:7]
	v_cndmask_b32_e64 v21, v21, 1.0, vcc
	v_cmp_class_f32_e64 s[6:7], v44, s34
	v_cndmask_b32_e64 v20, |v20|, v21, s[6:7]
	v_div_scale_f32 v21, s[6:7], v20, v20, 1.0
	v_rcp_f32_e32 v30, v21
	v_fma_f32 v31, -v21, v30, 1.0
	v_fmac_f32_e32 v30, v31, v30
	v_div_scale_f32 v31, vcc, 1.0, v20, 1.0
	v_mul_f32_e32 v32, v31, v30
	v_fma_f32 v33, -v21, v32, v31
	v_fmac_f32_e32 v32, v33, v30
	v_fma_f32 v21, -v21, v32, v31
	v_div_fmas_f32 v21, v21, v30, v32
	v_div_fixup_f32 v20, v21, v20, 1.0
	v_mul_f32_e32 v9, v9, v20
	v_fmac_f32_e32 v8, v25, v9
	s_waitcnt vmcnt(0)
	v_pk_mov_b32 v[20:21], v[18:19], v[18:19] op_sel:[0,1]
	v_mov_b32_e32 v30, v24
.LBB0_42:                               ;   in Loop: Header=BB0_43 Depth=1
	s_or_b64 exec, exec, s[12:13]
	s_add_i32 s20, s20, 1
	v_cmp_eq_u32_e32 vcc, s20, v48
	s_or_b64 s[10:11], vcc, s[10:11]
	v_add_u32_e32 v5, 52, v5
	s_andn2_b64 exec, exec, s[10:11]
	s_cbranch_execz .LBB0_50
.LBB0_43:                               ; =>This Inner Loop Header: Depth=1
	buffer_load_dword v18, v5, s[0:3], 0 offen offset:12
	s_waitcnt vmcnt(0)
	v_cmp_ge_i32_e32 vcc, v18, v7
	s_and_saveexec_b64 s[12:13], vcc
	s_cbranch_execz .LBB0_42
; %bb.44:                               ;   in Loop: Header=BB0_43 Depth=1
	buffer_load_dword v25, v5, s[0:3], 0 offen offset:48
	buffer_load_dword v24, v5, s[0:3], 0 offen
	buffer_load_dword v18, v5, s[0:3], 0 offen offset:4
	buffer_load_dword v19, v5, s[0:3], 0 offen offset:8
	s_waitcnt vmcnt(3)
	v_cmp_eq_f32_e32 vcc, -1.0, v25
	s_and_saveexec_b64 s[16:17], vcc
	s_cbranch_execz .LBB0_46
; %bb.45:                               ;   in Loop: Header=BB0_43 Depth=1
	buffer_load_dword v25, v5, s[0:3], 0 offen offset:36
	buffer_load_dword v31, v5, s[0:3], 0 offen offset:20
	buffer_load_dword v32, v5, s[0:3], 0 offen offset:40
	buffer_load_dword v33, v5, s[0:3], 0 offen offset:24
	buffer_load_dword v34, v5, s[0:3], 0 offen offset:16
	buffer_load_dword v35, v5, s[0:3], 0 offen offset:32
	s_waitcnt vmcnt(5)
	v_cmp_eq_u32_e32 vcc, 31, v25
	s_waitcnt vmcnt(4)
	v_cmp_gt_i32_e64 s[6:7], 30, v31
	v_sub_u32_e32 v31, 30, v31
	s_waitcnt vmcnt(2)
	v_sub_u32_e32 v33, v32, v33
	s_waitcnt vmcnt(1)
	v_not_b32_e32 v32, v34
	s_and_b64 vcc, vcc, s[6:7]
	v_min_i32_e32 v25, 30, v25
	s_waitcnt vmcnt(0)
	v_addc_co_u32_e64 v34, s[6:7], v35, v32, vcc
	v_max_i32_e32 v32, 0, v31
	v_mul_lo_u32 v31, v34, 30
	v_cndmask_b32_e64 v25, v25, 1, vcc
	v_mad_u64_u32 v[32:33], s[6:7], v33, s21, v[32:33]
	v_add3_u32 v25, v32, v25, v31
	v_cvt_f32_i32_e32 v25, v25
	v_div_scale_f32 v31, s[6:7], s22, s22, v25
	v_rcp_f32_e32 v32, v31
	v_div_scale_f32 v33, vcc, v25, s22, v25
	v_fma_f32 v34, -v31, v32, 1.0
	v_fmac_f32_e32 v32, v34, v32
	v_mul_f32_e32 v34, v33, v32
	v_fma_f32 v35, -v31, v34, v33
	v_fmac_f32_e32 v34, v35, v32
	v_fma_f32 v31, -v31, v34, v33
	v_div_fmas_f32 v31, v31, v32, v34
	v_div_fixup_f32 v25, v31, s22, v25
	buffer_load_dword v31, off, s[0:3], 0 offset:1028 ; 4-byte Folded Reload
	s_waitcnt vmcnt(0)
	v_fma_f32 v25, v31, v25, 1.0
	v_add_f32_e32 v25, -1.0, v25
	v_mul_f32_e32 v25, 0x42c80000, v25
.LBB0_46:                               ;   in Loop: Header=BB0_43 Depth=1
	s_or_b64 exec, exec, s[16:17]
	s_xor_b64 s[6:7], s[8:9], -1
	s_waitcnt vmcnt(1)
	v_cmp_eq_u32_e32 vcc, 31, v18
	v_min_i32_e32 v31, 30, v18
                                        ; implicit-def: $vgpr32
	s_and_saveexec_b64 s[16:17], s[6:7]
	s_xor_b64 s[16:17], exec, s[16:17]
	s_cbranch_execz .LBB0_48
; %bb.47:                               ;   in Loop: Header=BB0_43 Depth=1
	v_cmp_gt_i32_e64 s[6:7], 30, v20
	s_and_b64 s[6:7], vcc, s[6:7]
	v_cndmask_b32_e64 v32, 0, 1, s[6:7]
	v_not_b32_e32 v30, v30
	v_sub_u32_e32 v20, 30, v20
	s_waitcnt vmcnt(0)
	v_sub_u32_e32 v21, v19, v21
	v_add3_u32 v30, v24, v30, v32
	v_max_i32_e32 v20, 0, v20
	v_mul_lo_u32 v30, v30, 30
	v_cndmask_b32_e64 v31, v31, 1, s[6:7]
	v_mad_u64_u32 v[20:21], s[6:7], v21, s21, v[20:21]
	v_add3_u32 v32, v20, v31, v30
                                        ; implicit-def: $vgpr31
.LBB0_48:                               ;   in Loop: Header=BB0_43 Depth=1
	s_andn2_saveexec_b64 s[6:7], s[16:17]
	s_cbranch_execz .LBB0_41
; %bb.49:                               ;   in Loop: Header=BB0_43 Depth=1
	s_and_b64 s[16:17], vcc, s[4:5]
	v_cndmask_b32_e64 v20, 0, 1, s[16:17]
	s_waitcnt vmcnt(0)
	v_sub_u32_e32 v21, v19, v6
	v_add3_u32 v20, v24, v27, v20
	v_mul_lo_u32 v30, v20, 30
	v_cndmask_b32_e64 v31, v31, 1, s[16:17]
	v_mad_u64_u32 v[20:21], s[16:17], v21, s21, v[4:5]
	v_add3_u32 v32, v20, v31, v30
	s_branch .LBB0_41
.LBB0_50:
	s_or_b64 exec, exec, s[10:11]
	s_mov_b32 s8, 0x42c80000
	v_div_scale_f32 v5, s[6:7], s8, s8, v23
	v_rcp_f32_e32 v9, v5
	v_div_scale_f32 v10, vcc, v23, s8, v23
	s_mov_b32 s6, 0x2441b0da
	v_fma_f32 v11, -v5, v9, 1.0
	v_fmac_f32_e32 v9, v11, v9
	v_mul_f32_e32 v11, v10, v9
	v_fma_f32 v18, -v5, v11, v10
	v_fmac_f32_e32 v11, v18, v9
	v_fma_f32 v5, -v5, v11, v10
	v_div_fmas_f32 v5, v5, v9, v11
	v_div_fixup_f32 v5, v5, s8, v23
	v_add_f32_e32 v5, v22, v5
	v_sub_f32_e32 v38, v5, v8
	v_mul_f32_e64 v8, |v38|, s6
	v_cmp_nle_f32_e64 s[6:7], |v38|, v8
	v_cmp_neq_f32_e32 vcc, 0, v38
	s_or_b64 s[6:7], vcc, s[6:7]
	v_mov_b32_e32 v20, 0x3d4ccccd
	s_and_saveexec_b64 s[16:17], s[6:7]
	s_cbranch_execz .LBB0_174
; %bb.51:
	v_mov_b32_e32 v8, 0x230
	s_mov_b64 s[8:9], -1
	s_mov_b32 s22, -1
	s_mov_b64 s[10:11], 0
	v_mov_b32_e32 v9, 0
	v_mov_b32_e32 v10, 1.0
	s_movk_i32 s23, 0x168
	s_mov_b32 s33, 0x43b40000
	s_mov_b32 s34, 0x3f2aaaab
	v_mov_b32_e32 v11, 0x3ecccdef
	s_mov_b32 s35, 0x3f317218
	s_movk_i32 s36, 0x204
	s_mov_b32 s37, 0x7f800000
	s_mov_b32 s38, 0x42b17218
	;; [unrolled: 1-line block ×4, first 2 shown]
	v_mov_b32_e32 v22, 0x3f83851f
	v_mov_b32_e32 v23, 0x37000000
	;; [unrolled: 1-line block ×3, first 2 shown]
                                        ; implicit-def: $vgpr29
                                        ; implicit-def: $vgpr20_vgpr21
	s_branch .LBB0_54
.LBB0_52:                               ;   in Loop: Header=BB0_54 Depth=1
	s_or_b64 exec, exec, s[6:7]
	v_cvt_f32_i32_e32 v20, v31
	s_andn2_b64 s[8:9], s[8:9], exec
	v_div_scale_f32 v21, s[6:7], s33, s33, v20
	v_rcp_f32_e32 v29, v21
	v_div_scale_f32 v30, vcc, v20, s33, v20
	v_fma_f32 v31, -v21, v29, 1.0
	v_fmac_f32_e32 v29, v31, v29
	v_mul_f32_e32 v31, v30, v29
	v_fma_f32 v32, -v21, v31, v30
	v_fmac_f32_e32 v31, v32, v29
	v_fma_f32 v21, -v21, v31, v30
	v_div_fmas_f32 v21, v21, v29, v31
	v_div_fixup_f32 v20, v21, s33, v20
	v_add_f32_e32 v39, v20, v20
	v_cmp_eq_f32_e32 vcc, 0, v39
	v_cndmask_b32_e64 v29, v22, 1.0, vcc
	v_frexp_mant_f32_e32 v20, v29
	v_cmp_gt_f32_e64 s[6:7], s34, v20
	v_cndmask_b32_e64 v21, 1.0, 2.0, s[6:7]
	v_mul_f32_e32 v20, v20, v21
	v_add_f32_e32 v31, 1.0, v20
	v_rcp_f32_e32 v36, v31
	v_add_f32_e32 v21, -1.0, v20
	v_add_f32_e32 v30, -1.0, v31
	v_sub_f32_e32 v20, v20, v30
	v_mul_f32_e32 v37, v21, v36
	v_mul_f32_e32 v30, v31, v37
	v_fma_f32 v32, v37, v31, -v30
	v_fmac_f32_e32 v32, v37, v20
	v_add_f32_e32 v20, v30, v32
	v_sub_f32_e32 v31, v21, v20
	v_pk_add_f32 v[34:35], v[20:21], v[30:31] neg_lo:[0,1] neg_hi:[0,1]
	v_mov_b32_e32 v33, v20
	v_pk_add_f32 v[20:21], v[34:35], v[32:33] neg_lo:[0,1] neg_hi:[0,1]
	v_add_f32_e32 v20, v20, v21
	v_add_f32_e32 v20, v31, v20
	v_mul_f32_e32 v21, v36, v20
	v_add_f32_e32 v20, v37, v21
	v_sub_f32_e32 v30, v20, v37
	v_sub_f32_e32 v40, v21, v30
	v_mul_f32_e32 v21, v20, v20
	v_fma_f32 v31, v20, v20, -v21
	v_add_f32_e32 v30, v40, v40
	v_fmac_f32_e32 v31, v20, v30
	v_add_f32_e32 v30, v21, v31
	v_mov_b32_e32 v32, 0x3e91f4c4
	v_fmac_f32_e32 v32, 0x3e76c4e1, v30
	v_fma_f32 v32, v30, v32, v11
	v_sub_f32_e32 v21, v30, v21
	v_sub_f32_e32 v41, v31, v21
	v_mul_f32_e32 v21, v30, v32
	v_fma_f32 v31, v30, v32, -v21
	v_fmac_f32_e32 v31, v41, v32
	v_add_f32_e32 v32, v21, v31
	v_add_f32_e32 v33, 0x3f2aaaaa, v32
	v_sub_f32_e32 v21, v32, v21
	v_sub_f32_e32 v21, v31, v21
	v_add_f32_e32 v31, 0xbf2aaaaa, v33
	v_add_f32_e32 v21, 0x31739010, v21
	v_sub_f32_e32 v31, v32, v31
	v_pk_mul_f32 v[34:35], v[20:21], v[30:31]
	v_fma_f32 v32, v30, v20, -v34
	v_pk_add_f32 v[36:37], v[20:21], v[30:31]
	v_fmac_f32_e32 v32, v30, v40
	v_mov_b32_e32 v35, v37
	v_fmac_f32_e32 v32, v41, v20
	v_pk_add_f32 v[30:31], v[34:35], v[32:33]
	v_sub_f32_e32 v21, v30, v34
	v_cvt_f64_f32_e32 v[34:35], v29
	v_frexp_exp_i32_f64_e32 v29, v[34:35]
	v_subbrev_co_u32_e64 v29, s[6:7], 0, v29, s[6:7]
	v_sub_f32_e32 v21, v32, v21
	v_sub_f32_e32 v32, v33, v31
	v_cvt_f32_i32_e32 v29, v29
	v_add_f32_e32 v36, v37, v32
	v_mov_b32_e32 v32, v31
	v_pk_mul_f32 v[32:33], v[30:31], v[32:33]
	v_fma_f32 v34, v30, v31, -v32
	v_fmac_f32_e32 v34, v30, v36
	v_mul_f32_e32 v30, 0x3f317218, v29
	v_fmac_f32_e32 v34, v21, v31
	v_fma_f32 v36, v29, s35, -v30
	v_fmac_f32_e32 v36, 0xb102e308, v29
	v_ldexp_f32 v37, v20, 1
	v_add_f32_e32 v31, v32, v34
	v_pk_add_f32 v[20:21], v[30:31], v[36:37]
	v_ldexp_f32 v29, v40, 1
	v_mov_b32_e32 v40, v31
	v_mov_b32_e32 v41, v21
	;; [unrolled: 1-line block ×3, first 2 shown]
	v_pk_add_f32 v[32:33], v[40:41], v[32:33] neg_lo:[0,1] neg_hi:[0,1]
	v_mov_b32_e32 v35, v31
	v_pk_add_f32 v[32:33], v[34:35], v[32:33] neg_lo:[0,1] neg_hi:[0,1]
	v_add_f32_e32 v29, v29, v32
	v_add_f32_e32 v31, v29, v33
	v_pk_add_f32 v[32:33], v[20:21], v[30:31] neg_lo:[0,1] neg_hi:[0,1]
	v_pk_add_f32 v[34:35], v[20:21], v[30:31]
	v_mov_b32_e32 v40, v32
	v_mov_b32_e32 v41, v35
	;; [unrolled: 1-line block ×3, first 2 shown]
	v_pk_add_f32 v[40:41], v[36:37], v[40:41]
	v_mov_b32_e32 v30, v41
	v_pk_add_f32 v[42:43], v[30:31], v[20:21] neg_lo:[0,1] neg_hi:[0,1]
	v_mov_b32_e32 v29, v42
	v_mov_b32_e32 v40, v35
	;; [unrolled: 1-line block ×4, first 2 shown]
	v_pk_add_f32 v[32:33], v[36:37], v[32:33] neg_lo:[0,1] neg_hi:[0,1]
	v_pk_add_f32 v[44:45], v[34:35], v[28:29] neg_lo:[0,1] neg_hi:[0,1]
	;; [unrolled: 1-line block ×3, first 2 shown]
	v_mov_b32_e32 v36, v31
	v_pk_add_f32 v[20:21], v[36:37], v[20:21] neg_lo:[0,1] neg_hi:[0,1]
	v_mov_b32_e32 v44, v32
	v_pk_add_f32 v[34:35], v[44:45], v[20:21]
	v_mov_b32_e32 v36, v35
	v_pk_add_f32 v[36:37], v[34:35], v[36:37]
	v_pk_add_f32 v[30:31], v[30:31], v[36:37]
	v_mov_b32_e32 v33, v41
	v_mov_b32_e32 v35, v30
	v_pk_add_f32 v[40:41], v[34:35], v[32:33] neg_lo:[0,1] neg_hi:[0,1]
	v_mov_b32_e32 v21, v36
	v_sub_f32_e32 v29, v34, v40
	v_pk_add_f32 v[20:21], v[20:21], v[40:41] neg_lo:[0,1] neg_hi:[0,1]
	v_sub_f32_e32 v29, v32, v29
	v_add_f32_e32 v20, v20, v29
	v_add_f32_e32 v20, v20, v21
	;; [unrolled: 1-line block ×3, first 2 shown]
	v_sub_f32_e32 v29, v21, v30
	v_sub_f32_e32 v20, v20, v29
	v_mul_f32_e32 v29, v39, v21
	v_fma_f32 v21, v39, v21, -v29
	v_fmac_f32_e32 v21, v39, v20
	v_add_f32_e32 v20, v29, v21
	v_cmp_class_f32_e64 s[6:7], v29, s36
	v_sub_f32_e32 v30, v20, v29
	v_cndmask_b32_e64 v20, v20, v29, s[6:7]
	v_cmp_eq_f32_e64 s[6:7], s38, v20
	v_cndmask_b32_e64 v29, 0, v23, s[6:7]
	v_sub_f32_e32 v21, v21, v30
	v_sub_f32_e32 v30, v20, v29
	v_mul_f32_e32 v31, 0x3fb8aa3b, v30
	v_fma_f32 v32, v30, s39, -v31
	v_rndne_f32_e32 v33, v31
	v_fmac_f32_e32 v32, 0x32a5705f, v30
	v_sub_f32_e32 v31, v31, v33
	v_add_f32_e32 v31, v31, v32
	v_exp_f32_e32 v31, v31
	v_cvt_i32_f32_e32 v32, v33
	v_cmp_neq_f32_e64 s[6:7], |v20|, s37
	v_cndmask_b32_e64 v20, 0, v21, s[6:7]
	v_cmp_ngt_f32_e64 s[6:7], s40, v30
	v_ldexp_f32 v21, v31, v32
	v_cndmask_b32_e64 v21, 0, v21, s[6:7]
	v_cmp_nlt_f32_e64 s[6:7], s38, v30
	v_add_f32_e32 v20, v29, v20
	v_cndmask_b32_e64 v21, v28, v21, s[6:7]
	v_fma_f32 v20, v21, v20, v21
	v_cmp_class_f32_e64 s[6:7], v21, s36
	v_cndmask_b32_e64 v20, v20, v21, s[6:7]
	v_cmp_eq_f32_e64 s[6:7], v39, |v39|
	v_cndmask_b32_e64 v21, 0, |v39|, s[6:7]
	v_cndmask_b32_e64 v21, v21, 1.0, vcc
	v_cmp_class_f32_e64 s[6:7], v39, s36
	v_cndmask_b32_e64 v20, |v20|, v21, s[6:7]
	v_div_scale_f32 v21, s[6:7], v20, v20, 1.0
	v_rcp_f32_e32 v29, v21
	v_fma_f32 v30, -v21, v29, 1.0
	v_fmac_f32_e32 v29, v30, v29
	v_div_scale_f32 v30, vcc, 1.0, v20, 1.0
	v_mul_f32_e32 v31, v30, v29
	v_fma_f32 v32, -v21, v31, v30
	v_fmac_f32_e32 v31, v32, v29
	v_fma_f32 v21, -v21, v31, v30
	v_div_fmas_f32 v21, v21, v29, v31
	v_div_fixup_f32 v20, v21, v20, 1.0
	v_mul_f32_e32 v10, v10, v20
	v_fmac_f32_e32 v9, v25, v10
	s_waitcnt vmcnt(0)
	v_pk_mov_b32 v[20:21], v[18:19], v[18:19] op_sel:[0,1]
	v_mov_b32_e32 v29, v24
.LBB0_53:                               ;   in Loop: Header=BB0_54 Depth=1
	s_or_b64 exec, exec, s[12:13]
	s_add_i32 s22, s22, 1
	v_cmp_eq_u32_e32 vcc, s22, v48
	s_or_b64 s[10:11], vcc, s[10:11]
	v_add_u32_e32 v8, 52, v8
	s_andn2_b64 exec, exec, s[10:11]
	s_cbranch_execz .LBB0_61
.LBB0_54:                               ; =>This Inner Loop Header: Depth=1
	buffer_load_dword v18, v8, s[0:3], 0 offen offset:12
	s_waitcnt vmcnt(0)
	v_cmp_ge_i32_e32 vcc, v18, v7
	s_and_saveexec_b64 s[12:13], vcc
	s_cbranch_execz .LBB0_53
; %bb.55:                               ;   in Loop: Header=BB0_54 Depth=1
	buffer_load_dword v25, v8, s[0:3], 0 offen offset:48
	buffer_load_dword v24, v8, s[0:3], 0 offen
	buffer_load_dword v18, v8, s[0:3], 0 offen offset:4
	buffer_load_dword v19, v8, s[0:3], 0 offen offset:8
	s_waitcnt vmcnt(3)
	v_cmp_eq_f32_e32 vcc, -1.0, v25
	s_and_saveexec_b64 s[20:21], vcc
	s_cbranch_execz .LBB0_57
; %bb.56:                               ;   in Loop: Header=BB0_54 Depth=1
	buffer_load_dword v25, v8, s[0:3], 0 offen offset:36
	buffer_load_dword v30, v8, s[0:3], 0 offen offset:20
	;; [unrolled: 1-line block ×6, first 2 shown]
	s_waitcnt vmcnt(5)
	v_cmp_eq_u32_e32 vcc, 31, v25
	s_waitcnt vmcnt(4)
	v_cmp_gt_i32_e64 s[6:7], 30, v30
	v_sub_u32_e32 v30, 30, v30
	s_waitcnt vmcnt(2)
	v_sub_u32_e32 v31, v31, v32
	s_waitcnt vmcnt(1)
	v_not_b32_e32 v32, v33
	s_and_b64 vcc, vcc, s[6:7]
	v_min_i32_e32 v25, 30, v25
	s_waitcnt vmcnt(0)
	v_addc_co_u32_e64 v32, s[6:7], v34, v32, vcc
	v_max_i32_e32 v30, 0, v30
	v_mul_lo_u32 v32, v32, 30
	v_cndmask_b32_e64 v25, v25, 1, vcc
	v_mad_u64_u32 v[30:31], s[6:7], v31, s23, v[30:31]
	v_add3_u32 v25, v30, v25, v32
	v_cvt_f32_i32_e32 v25, v25
	v_div_scale_f32 v30, s[6:7], s33, s33, v25
	v_rcp_f32_e32 v31, v30
	v_div_scale_f32 v32, vcc, v25, s33, v25
	v_fma_f32 v33, -v30, v31, 1.0
	v_fmac_f32_e32 v31, v33, v31
	v_mul_f32_e32 v33, v32, v31
	v_fma_f32 v34, -v30, v33, v32
	v_fmac_f32_e32 v33, v34, v31
	v_fma_f32 v30, -v30, v33, v32
	v_div_fmas_f32 v30, v30, v31, v33
	v_div_fixup_f32 v25, v30, s33, v25
	buffer_load_dword v30, off, s[0:3], 0 offset:1028 ; 4-byte Folded Reload
	s_waitcnt vmcnt(0)
	v_fma_f32 v25, v30, v25, 1.0
	v_add_f32_e32 v25, -1.0, v25
	v_mul_f32_e32 v25, 0x42c80000, v25
.LBB0_57:                               ;   in Loop: Header=BB0_54 Depth=1
	s_or_b64 exec, exec, s[20:21]
	s_xor_b64 s[6:7], s[8:9], -1
	s_waitcnt vmcnt(1)
	v_cmp_eq_u32_e32 vcc, 31, v18
	v_min_i32_e32 v30, 30, v18
                                        ; implicit-def: $vgpr31
	s_and_saveexec_b64 s[20:21], s[6:7]
	s_xor_b64 s[20:21], exec, s[20:21]
	s_cbranch_execz .LBB0_59
; %bb.58:                               ;   in Loop: Header=BB0_54 Depth=1
	v_cmp_gt_i32_e64 s[6:7], 30, v20
	s_and_b64 s[6:7], vcc, s[6:7]
	v_cndmask_b32_e64 v31, 0, 1, s[6:7]
	v_not_b32_e32 v29, v29
	v_sub_u32_e32 v20, 30, v20
	s_waitcnt vmcnt(0)
	v_sub_u32_e32 v21, v19, v21
	v_add3_u32 v29, v24, v29, v31
	v_max_i32_e32 v20, 0, v20
	v_mul_lo_u32 v29, v29, 30
	v_cndmask_b32_e64 v30, v30, 1, s[6:7]
	v_mad_u64_u32 v[20:21], s[6:7], v21, s23, v[20:21]
	v_add3_u32 v31, v20, v30, v29
                                        ; implicit-def: $vgpr30
.LBB0_59:                               ;   in Loop: Header=BB0_54 Depth=1
	s_andn2_saveexec_b64 s[6:7], s[20:21]
	s_cbranch_execz .LBB0_52
; %bb.60:                               ;   in Loop: Header=BB0_54 Depth=1
	s_and_b64 s[20:21], vcc, s[4:5]
	v_cndmask_b32_e64 v20, 0, 1, s[20:21]
	s_waitcnt vmcnt(0)
	v_sub_u32_e32 v21, v19, v6
	v_add3_u32 v20, v24, v27, v20
	v_mul_lo_u32 v29, v20, 30
	v_cndmask_b32_e64 v30, v30, 1, s[20:21]
	v_mad_u64_u32 v[20:21], s[20:21], v21, s23, v[4:5]
	v_add3_u32 v31, v20, v30, v29
	s_branch .LBB0_52
.LBB0_61:
	s_or_b64 exec, exec, s[10:11]
	v_sub_f32_e32 v8, v5, v9
	s_mov_b64 s[20:21], 0
	v_mov_b32_e32 v10, 2
	v_mov_b32_e32 v36, 0x3d6147ae
	;; [unrolled: 1-line block ×3, first 2 shown]
	v_mov_b32_e32 v35, -1
	s_movk_i32 s33, 0x168
	s_mov_b32 s54, 0x43b40000
	s_mov_b32 s55, 0x3f2aaaab
	v_mov_b32_e32 v30, 0x3ecccdef
	s_mov_b32 s56, 0x3f317218
	s_movk_i32 s57, 0x204
	s_mov_b32 s58, 0x7f800000
	s_mov_b32 s59, 0x42b17218
	;; [unrolled: 1-line block ×4, first 2 shown]
	s_brev_b32 s62, -2
	s_movk_i32 s63, 0x63
	v_mov_b32_e32 v32, 0x37000000
	v_mov_b32_e32 v33, 0x7f800000
	;; [unrolled: 1-line block ×3, first 2 shown]
                                        ; implicit-def: $sgpr22_sgpr23
                                        ; implicit-def: $sgpr36_sgpr37
                                        ; implicit-def: $sgpr34_sgpr35
	s_branch .LBB0_65
.LBB0_62:                               ;   in Loop: Header=BB0_65 Depth=1
	s_or_b64 exec, exec, s[42:43]
	v_sub_f32_e32 v38, v5, v10
	v_mov_b32_e32 v9, v28
	v_mov_b32_e32 v8, v31
	;; [unrolled: 1-line block ×3, first 2 shown]
.LBB0_63:                               ;   in Loop: Header=BB0_65 Depth=1
	s_or_b64 exec, exec, s[40:41]
	v_cmp_lt_i32_e32 vcc, s63, v9
	s_andn2_b64 s[8:9], s[36:37], exec
	s_and_b64 s[10:11], vcc, exec
	v_add_u32_e32 v10, 1, v9
	s_mov_b32 s6, 0
	s_andn2_b64 s[34:35], s[34:35], exec
	s_or_b64 s[36:37], s[8:9], s[10:11]
.LBB0_64:                               ;   in Loop: Header=BB0_65 Depth=1
	s_or_b64 exec, exec, s[38:39]
	s_and_b64 s[8:9], exec, s[36:37]
	s_or_b64 s[20:21], s[8:9], s[20:21]
	v_mov_b32_e32 v20, s6
	s_andn2_b64 s[6:7], s[22:23], exec
	s_and_b64 s[8:9], s[34:35], exec
	s_or_b64 s[22:23], s[6:7], s[8:9]
	s_andn2_b64 exec, exec, s[20:21]
	s_cbranch_execz .LBB0_121
.LBB0_65:                               ; =>This Loop Header: Depth=1
                                        ;     Child Loop BB0_73 Depth 2
                                        ;     Child Loop BB0_87 Depth 2
	;; [unrolled: 1-line block ×4, first 2 shown]
	v_mov_b32_e32 v29, v38
	v_mov_b32_e32 v31, v8
	v_mul_f32_e32 v8, v31, v29
	v_mov_b32_e32 v22, v37
	v_mov_b32_e32 v23, v36
	v_mov_b32_e32 v28, v10
	v_cmp_nge_f32_e32 vcc, 0, v8
	s_or_b64 s[34:35], s[34:35], exec
	s_or_b64 s[36:37], s[36:37], exec
                                        ; implicit-def: $vgpr37
                                        ; implicit-def: $vgpr36
                                        ; implicit-def: $vgpr38
                                        ; implicit-def: $vgpr8
                                        ; implicit-def: $vgpr10
                                        ; implicit-def: $sgpr6
	s_and_saveexec_b64 s[38:39], vcc
	s_cbranch_execz .LBB0_64
; %bb.66:                               ;   in Loop: Header=BB0_65 Depth=1
	v_cmp_nlt_f32_e64 s[6:7], |v29|, |v31|
                                        ; implicit-def: $vgpr9
                                        ; implicit-def: $vgpr8
                                        ; implicit-def: $vgpr38
                                        ; implicit-def: $vgpr36
                                        ; implicit-def: $vgpr37
	s_and_saveexec_b64 s[8:9], s[6:7]
	s_xor_b64 s[40:41], exec, s[8:9]
	s_cbranch_execz .LBB0_110
; %bb.67:                               ;   in Loop: Header=BB0_65 Depth=1
	v_cmp_ngt_f32_e64 s[6:7], |v29|, |v31|
                                        ; implicit-def: $vgpr9
                                        ; implicit-def: $vgpr8
                                        ; implicit-def: $vgpr38
                                        ; implicit-def: $vgpr36
                                        ; implicit-def: $vgpr37
	s_and_saveexec_b64 s[8:9], s[6:7]
	s_xor_b64 s[42:43], exec, s[8:9]
	s_cbranch_execz .LBB0_97
; %bb.68:                               ;   in Loop: Header=BB0_65 Depth=1
	v_cmp_lt_i32_e32 vcc, 0, v35
                                        ; implicit-def: $vgpr8
                                        ; implicit-def: $vgpr36
	s_and_saveexec_b64 s[6:7], vcc
	s_xor_b64 s[44:45], exec, s[6:7]
	s_cbranch_execz .LBB0_82
; %bb.69:                               ;   in Loop: Header=BB0_65 Depth=1
	v_cmp_eq_u32_e32 vcc, 1, v35
	v_mov_b32_e32 v35, 0
	v_mov_b32_e32 v8, v31
	;; [unrolled: 1-line block ×3, first 2 shown]
	s_and_saveexec_b64 s[46:47], vcc
	s_cbranch_execz .LBB0_81
; %bb.70:                               ;   in Loop: Header=BB0_65 Depth=1
	v_sub_f32_e32 v8, v23, v22
	v_mov_b32_e32 v36, v23
	v_fmac_f32_e32 v36, 0x3fcccccd, v8
	v_fma_f32 v8, v36, 0.5, 1.0
	v_cmp_eq_f32_e64 s[6:7], 1.0, v8
	v_mov_b32_e32 v9, 0x230
	s_mov_b64 s[50:51], -1
	s_mov_b64 s[48:49], 0
	v_mov_b32_e32 v10, 0
	v_mov_b32_e32 v11, 1.0
	v_mov_b32_e32 v35, v26
                                        ; implicit-def: $vgpr37
                                        ; implicit-def: $vgpr20_vgpr21
	s_branch .LBB0_73
.LBB0_71:                               ;   in Loop: Header=BB0_73 Depth=2
	s_or_b64 exec, exec, s[8:9]
	v_cvt_f32_i32_e32 v20, v39
	s_andn2_b64 s[50:51], s[50:51], exec
	v_div_scale_f32 v21, s[8:9], s54, s54, v20
	v_rcp_f32_e32 v37, v21
	v_div_scale_f32 v38, vcc, v20, s54, v20
	v_fma_f32 v39, -v21, v37, 1.0
	v_fmac_f32_e32 v37, v39, v37
	v_mul_f32_e32 v39, v38, v37
	v_fma_f32 v40, -v21, v39, v38
	v_fmac_f32_e32 v39, v40, v37
	v_fma_f32 v21, -v21, v39, v38
	v_div_fmas_f32 v21, v21, v37, v39
	v_div_fixup_f32 v20, v21, s54, v20
	v_add_f32_e32 v49, v20, v20
	v_cndmask_b32_e64 v54, v49, 1.0, s[6:7]
	v_cmp_eq_f32_e32 vcc, 0, v54
	v_cndmask_b32_e64 v55, |v8|, 1.0, vcc
	v_frexp_mant_f32_e32 v20, v55
	v_cmp_gt_f32_e64 s[8:9], s55, v20
	v_cndmask_b32_e64 v21, 1.0, 2.0, s[8:9]
	v_mul_f32_e32 v20, v20, v21
	v_add_f32_e32 v37, 1.0, v20
	v_rcp_f32_e32 v44, v37
	v_add_f32_e32 v21, -1.0, v20
	v_add_f32_e32 v38, -1.0, v37
	v_sub_f32_e32 v20, v20, v38
	v_mul_f32_e32 v45, v21, v44
	v_mul_f32_e32 v38, v37, v45
	v_fma_f32 v40, v45, v37, -v38
	v_fmac_f32_e32 v40, v45, v20
	v_add_f32_e32 v20, v38, v40
	v_sub_f32_e32 v39, v21, v20
	v_pk_add_f32 v[42:43], v[20:21], v[38:39] neg_lo:[0,1] neg_hi:[0,1]
	v_mov_b32_e32 v41, v20
	v_pk_add_f32 v[20:21], v[42:43], v[40:41] neg_lo:[0,1] neg_hi:[0,1]
	v_add_f32_e32 v20, v20, v21
	v_add_f32_e32 v20, v39, v20
	v_mul_f32_e32 v21, v44, v20
	v_add_f32_e32 v20, v45, v21
	v_sub_f32_e32 v37, v20, v45
	v_sub_f32_e32 v37, v21, v37
	v_mul_f32_e32 v21, v20, v20
	v_fma_f32 v39, v20, v20, -v21
	v_add_f32_e32 v38, v37, v37
	v_fmac_f32_e32 v39, v20, v38
	v_add_f32_e32 v38, v21, v39
	v_mov_b32_e32 v40, 0x3e91f4c4
	v_fmac_f32_e32 v40, 0x3e76c4e1, v38
	v_fma_f32 v40, v38, v40, v30
	v_sub_f32_e32 v21, v38, v21
	v_sub_f32_e32 v46, v39, v21
	v_mul_f32_e32 v21, v38, v40
	v_fma_f32 v39, v38, v40, -v21
	v_fmac_f32_e32 v39, v46, v40
	v_add_f32_e32 v40, v21, v39
	v_add_f32_e32 v41, 0x3f2aaaaa, v40
	v_sub_f32_e32 v21, v40, v21
	v_sub_f32_e32 v21, v39, v21
	v_add_f32_e32 v39, 0xbf2aaaaa, v41
	v_add_f32_e32 v21, 0x31739010, v21
	v_sub_f32_e32 v39, v40, v39
	v_pk_mul_f32 v[42:43], v[20:21], v[38:39]
	v_fma_f32 v40, v38, v20, -v42
	v_pk_add_f32 v[44:45], v[20:21], v[38:39]
	v_fmac_f32_e32 v40, v38, v37
	v_mov_b32_e32 v43, v45
	v_fmac_f32_e32 v40, v46, v20
	v_pk_add_f32 v[38:39], v[42:43], v[40:41]
	v_sub_f32_e32 v21, v38, v42
	v_sub_f32_e32 v21, v40, v21
	;; [unrolled: 1-line block ×3, first 2 shown]
	v_add_f32_e32 v44, v45, v40
	v_mov_b32_e32 v40, v39
	v_pk_mul_f32 v[40:41], v[38:39], v[40:41]
	v_cvt_f64_f32_e32 v[42:43], v55
	v_frexp_exp_i32_f64_e32 v41, v[42:43]
	v_subbrev_co_u32_e64 v41, s[8:9], 0, v41, s[8:9]
	v_cvt_f32_i32_e32 v41, v41
	v_fma_f32 v42, v38, v39, -v40
	v_fmac_f32_e32 v42, v38, v44
	v_fmac_f32_e32 v42, v21, v39
	v_mul_f32_e32 v38, 0x3f317218, v41
	v_fma_f32 v44, v41, s56, -v38
	v_fmac_f32_e32 v44, 0xb102e308, v41
	v_ldexp_f32 v45, v20, 1
	v_add_f32_e32 v39, v40, v42
	v_pk_add_f32 v[20:21], v[38:39], v[44:45]
	v_mov_b32_e32 v46, v39
	v_mov_b32_e32 v47, v21
	;; [unrolled: 1-line block ×3, first 2 shown]
	v_pk_add_f32 v[40:41], v[46:47], v[40:41] neg_lo:[0,1] neg_hi:[0,1]
	v_mov_b32_e32 v43, v39
	v_ldexp_f32 v37, v37, 1
	v_pk_add_f32 v[40:41], v[42:43], v[40:41] neg_lo:[0,1] neg_hi:[0,1]
	v_add_f32_e32 v37, v37, v40
	v_add_f32_e32 v39, v37, v41
	v_pk_add_f32 v[40:41], v[20:21], v[38:39] neg_lo:[0,1] neg_hi:[0,1]
	v_pk_add_f32 v[42:43], v[20:21], v[38:39]
	v_mov_b32_e32 v46, v40
	v_mov_b32_e32 v47, v43
	;; [unrolled: 1-line block ×3, first 2 shown]
	v_pk_add_f32 v[46:47], v[44:45], v[46:47]
	v_mov_b32_e32 v38, v47
	v_pk_add_f32 v[50:51], v[38:39], v[20:21] neg_lo:[0,1] neg_hi:[0,1]
	v_mov_b32_e32 v37, v50
	v_mov_b32_e32 v46, v43
	v_mov_b32_e32 v20, v21
	v_mov_b32_e32 v21, v50
	v_pk_add_f32 v[40:41], v[44:45], v[40:41] neg_lo:[0,1] neg_hi:[0,1]
	v_pk_add_f32 v[52:53], v[42:43], v[36:37] neg_lo:[0,1] neg_hi:[0,1]
	v_pk_add_f32 v[20:21], v[46:47], v[20:21] neg_lo:[0,1] neg_hi:[0,1]
	v_mov_b32_e32 v44, v39
	v_pk_add_f32 v[20:21], v[44:45], v[20:21] neg_lo:[0,1] neg_hi:[0,1]
	v_mov_b32_e32 v52, v40
	v_pk_add_f32 v[42:43], v[52:53], v[20:21]
	v_mov_b32_e32 v44, v43
	v_pk_add_f32 v[44:45], v[42:43], v[44:45]
	v_pk_add_f32 v[38:39], v[38:39], v[44:45]
	v_mov_b32_e32 v41, v47
	v_mov_b32_e32 v43, v38
	v_pk_add_f32 v[46:47], v[42:43], v[40:41] neg_lo:[0,1] neg_hi:[0,1]
	v_mov_b32_e32 v21, v44
	v_sub_f32_e32 v37, v42, v46
	v_pk_add_f32 v[20:21], v[20:21], v[46:47] neg_lo:[0,1] neg_hi:[0,1]
	v_sub_f32_e32 v37, v40, v37
	v_add_f32_e32 v20, v20, v37
	v_add_f32_e32 v20, v20, v21
	v_add_f32_e32 v21, v38, v20
	v_sub_f32_e32 v37, v21, v38
	v_sub_f32_e32 v20, v20, v37
	v_mul_f32_e32 v37, v54, v21
	v_fma_f32 v21, v54, v21, -v37
	v_fmac_f32_e32 v21, v54, v20
	v_add_f32_e32 v20, v37, v21
	v_cmp_class_f32_e64 s[8:9], v37, s57
	v_sub_f32_e32 v38, v20, v37
	v_cndmask_b32_e64 v20, v20, v37, s[8:9]
	v_cmp_eq_f32_e64 s[8:9], s59, v20
	v_cndmask_b32_e64 v37, 0, v32, s[8:9]
	v_sub_f32_e32 v21, v21, v38
	v_sub_f32_e32 v38, v20, v37
	v_mul_f32_e32 v39, 0x3fb8aa3b, v38
	v_fma_f32 v40, v38, s60, -v39
	v_rndne_f32_e32 v41, v39
	v_fmac_f32_e32 v40, 0x32a5705f, v38
	v_sub_f32_e32 v39, v39, v41
	v_add_f32_e32 v39, v39, v40
	v_exp_f32_e32 v39, v39
	v_cvt_i32_f32_e32 v40, v41
	v_cmp_neq_f32_e64 s[8:9], |v20|, s58
	v_cndmask_b32_e64 v20, 0, v21, s[8:9]
	v_cmp_ngt_f32_e64 s[8:9], s61, v38
	v_ldexp_f32 v21, v39, v40
	v_cndmask_b32_e64 v21, 0, v21, s[8:9]
	v_cmp_nlt_f32_e64 s[8:9], s59, v38
	v_add_f32_e32 v20, v37, v20
	v_cndmask_b32_e64 v21, v33, v21, s[8:9]
	v_fma_f32 v20, v21, v20, v21
	v_cmp_class_f32_e64 s[8:9], v21, s57
	v_trunc_f32_e32 v37, v54
	v_cndmask_b32_e64 v20, v20, v21, s[8:9]
	v_cndmask_b32_e64 v21, v8, 1.0, vcc
	v_cmp_eq_f32_e32 vcc, v37, v54
	v_mul_f32_e32 v37, 0.5, v54
	v_trunc_f32_e32 v38, v37
	v_cmp_neq_f32_e64 s[8:9], v38, v37
	s_and_b64 s[8:9], vcc, s[8:9]
	v_cndmask_b32_e64 v37, 1.0, v21, s[8:9]
	v_bfi_b32 v20, s62, v20, v37
	v_cndmask_b32_e32 v37, v34, v20, vcc
	v_cmp_gt_f32_e32 vcc, 0, v21
	v_cndmask_b32_e32 v20, v20, v37, vcc
	v_cndmask_b32_e64 v37, |v49|, 1.0, s[6:7]
	v_cmp_neq_f32_e32 vcc, v54, v37
	v_cmp_gt_f32_e64 s[10:11], 1.0, v55
	s_xor_b64 s[10:11], vcc, s[10:11]
	v_cndmask_b32_e64 v38, v37, 0, s[10:11]
	v_cmp_eq_f32_e32 vcc, 1.0, v55
	v_cmp_eq_f32_e64 s[10:11], 0, v21
	v_cmp_gt_f32_e64 s[12:13], 0, v54
	v_cndmask_b32_e32 v38, v38, v55, vcc
	v_cmp_eq_f32_e32 vcc, s58, v37
	s_xor_b64 s[12:13], s[12:13], s[10:11]
	v_cndmask_b32_e32 v20, v20, v38, vcc
	v_cmp_eq_f32_e32 vcc, s58, v55
	v_cndmask_b32_e64 v37, v33, 0, s[12:13]
	v_cndmask_b32_e64 v38, 0, v21, s[8:9]
	v_bfi_b32 v37, s62, v37, v38
	s_or_b64 vcc, vcc, s[10:11]
	v_cndmask_b32_e32 v20, v20, v37, vcc
	v_div_scale_f32 v37, s[8:9], v20, v20, 1.0
	v_rcp_f32_e32 v38, v37
	v_fma_f32 v39, -v37, v38, 1.0
	v_fmac_f32_e32 v38, v39, v38
	v_div_scale_f32 v39, vcc, 1.0, v20, 1.0
	v_mul_f32_e32 v40, v39, v38
	v_fma_f32 v41, -v37, v40, v39
	v_fmac_f32_e32 v40, v41, v38
	v_fma_f32 v37, -v37, v40, v39
	v_div_fmas_f32 v37, v37, v38, v40
	v_div_fixup_f32 v20, v37, v20, 1.0
	v_cmp_o_f32_e32 vcc, v21, v21
	v_cndmask_b32_e32 v20, v34, v20, vcc
	v_mul_f32_e32 v11, v11, v20
	v_fmac_f32_e32 v10, v25, v11
	s_waitcnt vmcnt(0)
	v_pk_mov_b32 v[20:21], v[18:19], v[18:19] op_sel:[0,1]
	v_mov_b32_e32 v37, v24
.LBB0_72:                               ;   in Loop: Header=BB0_73 Depth=2
	s_or_b64 exec, exec, s[52:53]
	v_add_u32_e32 v35, -1, v35
	v_cmp_eq_u32_e32 vcc, 0, v35
	s_or_b64 s[48:49], vcc, s[48:49]
	v_add_u32_e32 v9, 52, v9
	s_andn2_b64 exec, exec, s[48:49]
	s_cbranch_execz .LBB0_80
.LBB0_73:                               ;   Parent Loop BB0_65 Depth=1
                                        ; =>  This Inner Loop Header: Depth=2
	buffer_load_dword v18, v9, s[0:3], 0 offen offset:12
	s_waitcnt vmcnt(0)
	v_cmp_ge_i32_e32 vcc, v18, v7
	s_and_saveexec_b64 s[52:53], vcc
	s_cbranch_execz .LBB0_72
; %bb.74:                               ;   in Loop: Header=BB0_73 Depth=2
	buffer_load_dword v25, v9, s[0:3], 0 offen offset:48
	buffer_load_dword v24, v9, s[0:3], 0 offen
	buffer_load_dword v18, v9, s[0:3], 0 offen offset:4
	buffer_load_dword v19, v9, s[0:3], 0 offen offset:8
	s_waitcnt vmcnt(3)
	v_cmp_eq_f32_e32 vcc, -1.0, v25
	s_and_saveexec_b64 s[10:11], vcc
	s_cbranch_execz .LBB0_76
; %bb.75:                               ;   in Loop: Header=BB0_73 Depth=2
	buffer_load_dword v25, v9, s[0:3], 0 offen offset:36
	buffer_load_dword v38, v9, s[0:3], 0 offen offset:20
	;; [unrolled: 1-line block ×6, first 2 shown]
	s_waitcnt vmcnt(5)
	v_cmp_eq_u32_e32 vcc, 31, v25
	s_waitcnt vmcnt(4)
	v_cmp_gt_i32_e64 s[8:9], 30, v38
	v_sub_u32_e32 v38, 30, v38
	s_waitcnt vmcnt(2)
	v_sub_u32_e32 v39, v39, v40
	s_waitcnt vmcnt(1)
	v_not_b32_e32 v40, v41
	s_and_b64 vcc, vcc, s[8:9]
	v_min_i32_e32 v25, 30, v25
	s_waitcnt vmcnt(0)
	v_addc_co_u32_e64 v40, s[8:9], v42, v40, vcc
	v_max_i32_e32 v38, 0, v38
	v_mul_lo_u32 v40, v40, 30
	v_cndmask_b32_e64 v25, v25, 1, vcc
	v_mad_u64_u32 v[38:39], s[8:9], v39, s33, v[38:39]
	v_add3_u32 v25, v38, v25, v40
	v_cvt_f32_i32_e32 v25, v25
	v_div_scale_f32 v38, s[8:9], s54, s54, v25
	v_rcp_f32_e32 v39, v38
	v_div_scale_f32 v40, vcc, v25, s54, v25
	v_fma_f32 v41, -v38, v39, 1.0
	v_fmac_f32_e32 v39, v41, v39
	v_mul_f32_e32 v41, v40, v39
	v_fma_f32 v42, -v38, v41, v40
	v_fmac_f32_e32 v41, v42, v39
	v_fma_f32 v38, -v38, v41, v40
	v_div_fmas_f32 v38, v38, v39, v41
	v_div_fixup_f32 v25, v38, s54, v25
	buffer_load_dword v38, off, s[0:3], 0 offset:1028 ; 4-byte Folded Reload
	s_waitcnt vmcnt(0)
	v_fma_f32 v25, v38, v25, 1.0
	v_add_f32_e32 v25, -1.0, v25
	v_mul_f32_e32 v25, 0x42c80000, v25
.LBB0_76:                               ;   in Loop: Header=BB0_73 Depth=2
	s_or_b64 exec, exec, s[10:11]
	s_xor_b64 s[8:9], s[50:51], -1
	s_waitcnt vmcnt(1)
	v_cmp_eq_u32_e32 vcc, 31, v18
	v_min_i32_e32 v38, 30, v18
                                        ; implicit-def: $vgpr39
	s_and_saveexec_b64 s[10:11], s[8:9]
	s_xor_b64 s[10:11], exec, s[10:11]
	s_cbranch_execz .LBB0_78
; %bb.77:                               ;   in Loop: Header=BB0_73 Depth=2
	v_cmp_gt_i32_e64 s[8:9], 30, v20
	s_and_b64 s[8:9], vcc, s[8:9]
	v_cndmask_b32_e64 v39, 0, 1, s[8:9]
	v_not_b32_e32 v37, v37
	v_sub_u32_e32 v20, 30, v20
	s_waitcnt vmcnt(0)
	v_sub_u32_e32 v21, v19, v21
	v_add3_u32 v37, v24, v37, v39
	v_max_i32_e32 v20, 0, v20
	v_mul_lo_u32 v37, v37, 30
	v_cndmask_b32_e64 v38, v38, 1, s[8:9]
	v_mad_u64_u32 v[20:21], s[8:9], v21, s33, v[20:21]
	v_add3_u32 v39, v20, v38, v37
                                        ; implicit-def: $vgpr38
.LBB0_78:                               ;   in Loop: Header=BB0_73 Depth=2
	s_andn2_saveexec_b64 s[8:9], s[10:11]
	s_cbranch_execz .LBB0_71
; %bb.79:                               ;   in Loop: Header=BB0_73 Depth=2
	s_and_b64 s[10:11], vcc, s[4:5]
	v_cndmask_b32_e64 v20, 0, 1, s[10:11]
	s_waitcnt vmcnt(0)
	v_sub_u32_e32 v21, v19, v6
	v_add3_u32 v20, v24, v27, v20
	v_mul_lo_u32 v37, v20, 30
	v_cndmask_b32_e64 v38, v38, 1, s[10:11]
	v_mad_u64_u32 v[20:21], s[10:11], v21, s33, v[4:5]
	v_add3_u32 v39, v20, v38, v37
	s_branch .LBB0_71
.LBB0_80:                               ;   in Loop: Header=BB0_65 Depth=1
	s_or_b64 exec, exec, s[48:49]
	v_sub_f32_e32 v8, v5, v10
	v_mov_b32_e32 v35, -1
.LBB0_81:                               ;   in Loop: Header=BB0_65 Depth=1
	s_or_b64 exec, exec, s[46:47]
.LBB0_82:                               ;   in Loop: Header=BB0_65 Depth=1
	s_or_saveexec_b64 s[44:45], s[44:45]
	v_mov_b32_e32 v9, v28
	v_mov_b32_e32 v38, v29
	v_mov_b32_e32 v37, v22
	s_xor_b64 exec, exec, s[44:45]
	s_cbranch_execz .LBB0_96
; %bb.83:                               ;   in Loop: Header=BB0_65 Depth=1
	v_cmp_eq_u32_e32 vcc, -1, v35
	v_mov_b32_e32 v35, 0
	v_mov_b32_e32 v9, v28
	;; [unrolled: 1-line block ×4, first 2 shown]
	s_and_saveexec_b64 s[46:47], vcc
	s_cbranch_execz .LBB0_95
; %bb.84:                               ;   in Loop: Header=BB0_65 Depth=1
	v_sub_f32_e32 v8, v22, v23
	v_mov_b32_e32 v37, v22
	v_fmac_f32_e32 v37, 0x3fcccccd, v8
	v_fma_f32 v8, v37, 0.5, 1.0
	v_cmp_eq_f32_e64 s[6:7], 1.0, v8
	v_mov_b32_e32 v9, 0x230
	s_mov_b64 s[50:51], -1
	s_mov_b64 s[48:49], 0
	v_mov_b32_e32 v10, 0
	v_mov_b32_e32 v11, 1.0
	v_mov_b32_e32 v35, v26
                                        ; implicit-def: $vgpr36
                                        ; implicit-def: $vgpr20_vgpr21
	s_branch .LBB0_87
.LBB0_85:                               ;   in Loop: Header=BB0_87 Depth=2
	s_or_b64 exec, exec, s[8:9]
	v_cvt_f32_i32_e32 v20, v39
	s_andn2_b64 s[50:51], s[50:51], exec
	v_div_scale_f32 v21, s[8:9], s54, s54, v20
	v_rcp_f32_e32 v36, v21
	v_div_scale_f32 v38, vcc, v20, s54, v20
	v_fma_f32 v39, -v21, v36, 1.0
	v_fmac_f32_e32 v36, v39, v36
	v_mul_f32_e32 v39, v38, v36
	v_fma_f32 v40, -v21, v39, v38
	v_fmac_f32_e32 v39, v40, v36
	v_fma_f32 v21, -v21, v39, v38
	v_div_fmas_f32 v21, v21, v36, v39
	v_div_fixup_f32 v20, v21, s54, v20
	v_add_f32_e32 v54, v20, v20
	v_cndmask_b32_e64 v55, v54, 1.0, s[6:7]
	v_cmp_eq_f32_e32 vcc, 0, v55
	v_cndmask_b32_e64 v56, |v8|, 1.0, vcc
	v_frexp_mant_f32_e32 v20, v56
	v_cmp_gt_f32_e64 s[8:9], s55, v20
	v_cndmask_b32_e64 v21, 1.0, 2.0, s[8:9]
	v_mul_f32_e32 v20, v20, v21
	v_add_f32_e32 v36, 1.0, v20
	v_rcp_f32_e32 v44, v36
	v_add_f32_e32 v21, -1.0, v20
	v_add_f32_e32 v38, -1.0, v36
	v_sub_f32_e32 v20, v20, v38
	v_mul_f32_e32 v45, v21, v44
	v_mul_f32_e32 v38, v36, v45
	v_fma_f32 v40, v45, v36, -v38
	v_fmac_f32_e32 v40, v45, v20
	v_add_f32_e32 v20, v38, v40
	v_sub_f32_e32 v39, v21, v20
	v_pk_add_f32 v[42:43], v[20:21], v[38:39] neg_lo:[0,1] neg_hi:[0,1]
	v_mov_b32_e32 v41, v20
	v_pk_add_f32 v[20:21], v[42:43], v[40:41] neg_lo:[0,1] neg_hi:[0,1]
	v_add_f32_e32 v20, v20, v21
	v_add_f32_e32 v20, v39, v20
	v_mul_f32_e32 v21, v44, v20
	v_add_f32_e32 v20, v45, v21
	v_sub_f32_e32 v36, v20, v45
	v_sub_f32_e32 v46, v21, v36
	v_mul_f32_e32 v21, v20, v20
	v_fma_f32 v36, v20, v20, -v21
	v_add_f32_e32 v38, v46, v46
	v_fmac_f32_e32 v36, v20, v38
	v_add_f32_e32 v38, v21, v36
	v_mov_b32_e32 v39, 0x3e91f4c4
	v_fmac_f32_e32 v39, 0x3e76c4e1, v38
	v_fma_f32 v39, v38, v39, v30
	v_sub_f32_e32 v21, v38, v21
	v_sub_f32_e32 v36, v36, v21
	v_mul_f32_e32 v21, v38, v39
	v_fma_f32 v40, v38, v39, -v21
	v_fmac_f32_e32 v40, v36, v39
	v_add_f32_e32 v39, v21, v40
	v_add_f32_e32 v41, 0x3f2aaaaa, v39
	v_sub_f32_e32 v21, v39, v21
	v_sub_f32_e32 v21, v40, v21
	v_add_f32_e32 v40, 0xbf2aaaaa, v41
	v_add_f32_e32 v21, 0x31739010, v21
	v_sub_f32_e32 v39, v39, v40
	v_pk_mul_f32 v[42:43], v[20:21], v[38:39]
	v_fma_f32 v40, v38, v20, -v42
	v_pk_add_f32 v[44:45], v[20:21], v[38:39]
	v_fmac_f32_e32 v40, v38, v46
	v_mov_b32_e32 v43, v45
	v_fmac_f32_e32 v40, v36, v20
	v_pk_add_f32 v[38:39], v[42:43], v[40:41]
	v_sub_f32_e32 v36, v41, v39
	v_sub_f32_e32 v21, v38, v42
	v_add_f32_e32 v44, v45, v36
	v_mov_b32_e32 v36, v39
	v_cvt_f64_f32_e32 v[42:43], v56
	v_sub_f32_e32 v21, v40, v21
	v_pk_mul_f32 v[40:41], v[38:39], v[36:37]
	v_frexp_exp_i32_f64_e32 v36, v[42:43]
	v_subbrev_co_u32_e64 v36, s[8:9], 0, v36, s[8:9]
	v_cvt_f32_i32_e32 v36, v36
	v_fma_f32 v42, v38, v39, -v40
	v_fmac_f32_e32 v42, v38, v44
	v_fmac_f32_e32 v42, v21, v39
	v_mul_f32_e32 v38, 0x3f317218, v36
	v_fma_f32 v44, v36, s56, -v38
	v_fmac_f32_e32 v44, 0xb102e308, v36
	v_ldexp_f32 v45, v20, 1
	v_add_f32_e32 v39, v40, v42
	v_pk_add_f32 v[20:21], v[38:39], v[44:45]
	v_ldexp_f32 v36, v46, 1
	v_mov_b32_e32 v46, v39
	v_mov_b32_e32 v47, v21
	;; [unrolled: 1-line block ×3, first 2 shown]
	v_pk_add_f32 v[40:41], v[46:47], v[40:41] neg_lo:[0,1] neg_hi:[0,1]
	v_mov_b32_e32 v43, v39
	v_pk_add_f32 v[40:41], v[42:43], v[40:41] neg_lo:[0,1] neg_hi:[0,1]
	v_add_f32_e32 v36, v36, v40
	v_add_f32_e32 v39, v36, v41
	v_pk_add_f32 v[40:41], v[20:21], v[38:39] neg_lo:[0,1] neg_hi:[0,1]
	v_pk_add_f32 v[42:43], v[20:21], v[38:39]
	v_mov_b32_e32 v46, v40
	v_mov_b32_e32 v47, v43
	;; [unrolled: 1-line block ×3, first 2 shown]
	v_pk_add_f32 v[46:47], v[44:45], v[46:47]
	v_mov_b32_e32 v36, v47
	v_pk_add_f32 v[50:51], v[36:37], v[20:21] neg_lo:[0,1] neg_hi:[0,1]
	v_mov_b32_e32 v49, v50
	v_mov_b32_e32 v46, v43
	;; [unrolled: 1-line block ×4, first 2 shown]
	v_pk_add_f32 v[40:41], v[44:45], v[40:41] neg_lo:[0,1] neg_hi:[0,1]
	v_pk_add_f32 v[52:53], v[42:43], v[48:49] neg_lo:[0,1] neg_hi:[0,1]
	;; [unrolled: 1-line block ×3, first 2 shown]
	v_mov_b32_e32 v44, v39
	v_pk_add_f32 v[20:21], v[44:45], v[20:21] neg_lo:[0,1] neg_hi:[0,1]
	v_mov_b32_e32 v52, v40
	v_pk_add_f32 v[38:39], v[52:53], v[20:21]
	v_mov_b32_e32 v42, v39
	v_pk_add_f32 v[42:43], v[38:39], v[42:43]
	v_pk_add_f32 v[44:45], v[36:37], v[42:43]
	v_mov_b32_e32 v41, v47
	v_mov_b32_e32 v39, v44
	v_pk_add_f32 v[46:47], v[38:39], v[40:41] neg_lo:[0,1] neg_hi:[0,1]
	v_mov_b32_e32 v21, v42
	v_sub_f32_e32 v36, v38, v46
	v_pk_add_f32 v[20:21], v[20:21], v[46:47] neg_lo:[0,1] neg_hi:[0,1]
	v_sub_f32_e32 v36, v40, v36
	v_add_f32_e32 v20, v20, v36
	v_add_f32_e32 v20, v20, v21
	;; [unrolled: 1-line block ×3, first 2 shown]
	v_sub_f32_e32 v36, v21, v44
	v_sub_f32_e32 v20, v20, v36
	v_mul_f32_e32 v36, v55, v21
	v_fma_f32 v21, v55, v21, -v36
	v_fmac_f32_e32 v21, v55, v20
	v_add_f32_e32 v20, v36, v21
	v_cmp_class_f32_e64 s[8:9], v36, s57
	v_sub_f32_e32 v38, v20, v36
	v_cndmask_b32_e64 v20, v20, v36, s[8:9]
	v_cmp_eq_f32_e64 s[8:9], s59, v20
	v_cndmask_b32_e64 v36, 0, v32, s[8:9]
	v_sub_f32_e32 v21, v21, v38
	v_sub_f32_e32 v38, v20, v36
	v_mul_f32_e32 v39, 0x3fb8aa3b, v38
	v_fma_f32 v40, v38, s60, -v39
	v_rndne_f32_e32 v41, v39
	v_fmac_f32_e32 v40, 0x32a5705f, v38
	v_sub_f32_e32 v39, v39, v41
	v_add_f32_e32 v39, v39, v40
	v_exp_f32_e32 v39, v39
	v_cvt_i32_f32_e32 v40, v41
	v_cmp_neq_f32_e64 s[8:9], |v20|, s58
	v_cndmask_b32_e64 v20, 0, v21, s[8:9]
	v_cmp_ngt_f32_e64 s[8:9], s61, v38
	v_ldexp_f32 v21, v39, v40
	v_cndmask_b32_e64 v21, 0, v21, s[8:9]
	v_cmp_nlt_f32_e64 s[8:9], s59, v38
	v_add_f32_e32 v20, v36, v20
	v_cndmask_b32_e64 v21, v33, v21, s[8:9]
	v_fma_f32 v20, v21, v20, v21
	v_cmp_class_f32_e64 s[8:9], v21, s57
	v_trunc_f32_e32 v36, v55
	v_cndmask_b32_e64 v20, v20, v21, s[8:9]
	v_cndmask_b32_e64 v21, v8, 1.0, vcc
	v_cmp_eq_f32_e32 vcc, v36, v55
	v_mul_f32_e32 v36, 0.5, v55
	v_trunc_f32_e32 v38, v36
	v_cmp_neq_f32_e64 s[8:9], v38, v36
	s_and_b64 s[8:9], vcc, s[8:9]
	v_cndmask_b32_e64 v36, 1.0, v21, s[8:9]
	v_bfi_b32 v20, s62, v20, v36
	v_cndmask_b32_e32 v36, v34, v20, vcc
	v_cmp_gt_f32_e32 vcc, 0, v21
	v_cndmask_b32_e32 v20, v20, v36, vcc
	v_cndmask_b32_e64 v36, |v54|, 1.0, s[6:7]
	v_cmp_neq_f32_e32 vcc, v55, v36
	v_cmp_gt_f32_e64 s[10:11], 1.0, v56
	s_xor_b64 s[10:11], vcc, s[10:11]
	v_cndmask_b32_e64 v38, v36, 0, s[10:11]
	v_cmp_eq_f32_e32 vcc, 1.0, v56
	v_cmp_eq_f32_e64 s[10:11], 0, v21
	v_cmp_gt_f32_e64 s[12:13], 0, v55
	v_cndmask_b32_e32 v38, v38, v56, vcc
	v_cmp_eq_f32_e32 vcc, s58, v36
	s_xor_b64 s[12:13], s[12:13], s[10:11]
	v_cndmask_b32_e32 v20, v20, v38, vcc
	v_cmp_eq_f32_e32 vcc, s58, v56
	v_cndmask_b32_e64 v36, v33, 0, s[12:13]
	v_cndmask_b32_e64 v38, 0, v21, s[8:9]
	v_bfi_b32 v36, s62, v36, v38
	s_or_b64 vcc, vcc, s[10:11]
	v_cndmask_b32_e32 v20, v20, v36, vcc
	v_div_scale_f32 v36, s[8:9], v20, v20, 1.0
	v_rcp_f32_e32 v38, v36
	v_fma_f32 v39, -v36, v38, 1.0
	v_fmac_f32_e32 v38, v39, v38
	v_div_scale_f32 v39, vcc, 1.0, v20, 1.0
	v_mul_f32_e32 v40, v39, v38
	v_fma_f32 v41, -v36, v40, v39
	v_fmac_f32_e32 v40, v41, v38
	v_fma_f32 v36, -v36, v40, v39
	v_div_fmas_f32 v36, v36, v38, v40
	v_div_fixup_f32 v20, v36, v20, 1.0
	v_cmp_o_f32_e32 vcc, v21, v21
	v_cndmask_b32_e32 v20, v34, v20, vcc
	v_mul_f32_e32 v11, v11, v20
	v_fmac_f32_e32 v10, v25, v11
	s_waitcnt vmcnt(0)
	v_pk_mov_b32 v[20:21], v[18:19], v[18:19] op_sel:[0,1]
	v_mov_b32_e32 v36, v24
.LBB0_86:                               ;   in Loop: Header=BB0_87 Depth=2
	s_or_b64 exec, exec, s[52:53]
	v_add_u32_e32 v35, -1, v35
	v_cmp_eq_u32_e32 vcc, 0, v35
	s_or_b64 s[48:49], vcc, s[48:49]
	v_add_u32_e32 v9, 52, v9
	s_andn2_b64 exec, exec, s[48:49]
	s_cbranch_execz .LBB0_94
.LBB0_87:                               ;   Parent Loop BB0_65 Depth=1
                                        ; =>  This Inner Loop Header: Depth=2
	buffer_load_dword v18, v9, s[0:3], 0 offen offset:12
	s_waitcnt vmcnt(0)
	v_cmp_ge_i32_e32 vcc, v18, v7
	s_and_saveexec_b64 s[52:53], vcc
	s_cbranch_execz .LBB0_86
; %bb.88:                               ;   in Loop: Header=BB0_87 Depth=2
	buffer_load_dword v25, v9, s[0:3], 0 offen offset:48
	buffer_load_dword v24, v9, s[0:3], 0 offen
	buffer_load_dword v18, v9, s[0:3], 0 offen offset:4
	buffer_load_dword v19, v9, s[0:3], 0 offen offset:8
	s_waitcnt vmcnt(3)
	v_cmp_eq_f32_e32 vcc, -1.0, v25
	s_and_saveexec_b64 s[10:11], vcc
	s_cbranch_execz .LBB0_90
; %bb.89:                               ;   in Loop: Header=BB0_87 Depth=2
	buffer_load_dword v25, v9, s[0:3], 0 offen offset:36
	buffer_load_dword v38, v9, s[0:3], 0 offen offset:20
	;; [unrolled: 1-line block ×6, first 2 shown]
	s_waitcnt vmcnt(5)
	v_cmp_eq_u32_e32 vcc, 31, v25
	s_waitcnt vmcnt(4)
	v_cmp_gt_i32_e64 s[8:9], 30, v38
	v_sub_u32_e32 v38, 30, v38
	s_waitcnt vmcnt(2)
	v_sub_u32_e32 v39, v39, v40
	s_waitcnt vmcnt(1)
	v_not_b32_e32 v40, v41
	s_and_b64 vcc, vcc, s[8:9]
	v_min_i32_e32 v25, 30, v25
	s_waitcnt vmcnt(0)
	v_addc_co_u32_e64 v40, s[8:9], v42, v40, vcc
	v_max_i32_e32 v38, 0, v38
	v_mul_lo_u32 v40, v40, 30
	v_cndmask_b32_e64 v25, v25, 1, vcc
	v_mad_u64_u32 v[38:39], s[8:9], v39, s33, v[38:39]
	v_add3_u32 v25, v38, v25, v40
	v_cvt_f32_i32_e32 v25, v25
	v_div_scale_f32 v38, s[8:9], s54, s54, v25
	v_rcp_f32_e32 v39, v38
	v_div_scale_f32 v40, vcc, v25, s54, v25
	v_fma_f32 v41, -v38, v39, 1.0
	v_fmac_f32_e32 v39, v41, v39
	v_mul_f32_e32 v41, v40, v39
	v_fma_f32 v42, -v38, v41, v40
	v_fmac_f32_e32 v41, v42, v39
	v_fma_f32 v38, -v38, v41, v40
	v_div_fmas_f32 v38, v38, v39, v41
	v_div_fixup_f32 v25, v38, s54, v25
	buffer_load_dword v38, off, s[0:3], 0 offset:1028 ; 4-byte Folded Reload
	s_waitcnt vmcnt(0)
	v_fma_f32 v25, v38, v25, 1.0
	v_add_f32_e32 v25, -1.0, v25
	v_mul_f32_e32 v25, 0x42c80000, v25
.LBB0_90:                               ;   in Loop: Header=BB0_87 Depth=2
	s_or_b64 exec, exec, s[10:11]
	s_xor_b64 s[8:9], s[50:51], -1
	s_waitcnt vmcnt(1)
	v_cmp_eq_u32_e32 vcc, 31, v18
	v_min_i32_e32 v38, 30, v18
                                        ; implicit-def: $vgpr39
	s_and_saveexec_b64 s[10:11], s[8:9]
	s_xor_b64 s[10:11], exec, s[10:11]
	s_cbranch_execz .LBB0_92
; %bb.91:                               ;   in Loop: Header=BB0_87 Depth=2
	v_cmp_gt_i32_e64 s[8:9], 30, v20
	s_and_b64 s[8:9], vcc, s[8:9]
	v_cndmask_b32_e64 v39, 0, 1, s[8:9]
	v_not_b32_e32 v36, v36
	v_sub_u32_e32 v20, 30, v20
	s_waitcnt vmcnt(0)
	v_sub_u32_e32 v21, v19, v21
	v_add3_u32 v36, v24, v36, v39
	v_max_i32_e32 v20, 0, v20
	v_mul_lo_u32 v36, v36, 30
	v_cndmask_b32_e64 v38, v38, 1, s[8:9]
	v_mad_u64_u32 v[20:21], s[8:9], v21, s33, v[20:21]
	v_add3_u32 v39, v20, v38, v36
                                        ; implicit-def: $vgpr38
.LBB0_92:                               ;   in Loop: Header=BB0_87 Depth=2
	s_andn2_saveexec_b64 s[8:9], s[10:11]
	s_cbranch_execz .LBB0_85
; %bb.93:                               ;   in Loop: Header=BB0_87 Depth=2
	s_and_b64 s[10:11], vcc, s[4:5]
	v_cndmask_b32_e64 v20, 0, 1, s[10:11]
	s_waitcnt vmcnt(0)
	v_sub_u32_e32 v21, v19, v6
	v_add3_u32 v20, v24, v27, v20
	v_mul_lo_u32 v36, v20, 30
	v_cndmask_b32_e64 v38, v38, 1, s[10:11]
	v_mad_u64_u32 v[20:21], s[10:11], v21, s33, v[4:5]
	v_add3_u32 v39, v20, v38, v36
	s_branch .LBB0_85
.LBB0_94:                               ;   in Loop: Header=BB0_65 Depth=1
	s_or_b64 exec, exec, s[48:49]
	v_sub_f32_e32 v38, v5, v10
	v_add_u32_e32 v9, 1, v28
	v_mov_b32_e32 v35, 1
.LBB0_95:                               ;   in Loop: Header=BB0_65 Depth=1
	s_or_b64 exec, exec, s[46:47]
	v_mov_b32_e32 v8, v31
	v_mov_b32_e32 v36, v23
.LBB0_96:                               ;   in Loop: Header=BB0_65 Depth=1
	s_or_b64 exec, exec, s[44:45]
.LBB0_97:                               ;   in Loop: Header=BB0_65 Depth=1
	s_andn2_saveexec_b64 s[42:43], s[42:43]
	s_cbranch_execz .LBB0_109
; %bb.98:                               ;   in Loop: Header=BB0_65 Depth=1
	v_sub_f32_e32 v8, v23, v22
	v_mov_b32_e32 v36, v23
	v_fmac_f32_e32 v36, 0x3fcccccd, v8
	v_fma_f32 v8, v36, 0.5, 1.0
	v_cmp_eq_f32_e64 s[6:7], 1.0, v8
	v_mov_b32_e32 v9, 0x230
	s_mov_b64 s[46:47], -1
	s_mov_b64 s[44:45], 0
	v_mov_b32_e32 v10, 0
	v_mov_b32_e32 v11, 1.0
	v_mov_b32_e32 v37, v26
                                        ; implicit-def: $vgpr38
                                        ; implicit-def: $vgpr20_vgpr21
	s_branch .LBB0_101
.LBB0_99:                               ;   in Loop: Header=BB0_101 Depth=2
	s_or_b64 exec, exec, s[8:9]
	v_cvt_f32_i32_e32 v20, v40
	s_andn2_b64 s[46:47], s[46:47], exec
	v_div_scale_f32 v21, s[8:9], s54, s54, v20
	v_rcp_f32_e32 v38, v21
	v_div_scale_f32 v39, vcc, v20, s54, v20
	v_fma_f32 v40, -v21, v38, 1.0
	v_fmac_f32_e32 v38, v40, v38
	v_mul_f32_e32 v40, v39, v38
	v_fma_f32 v41, -v21, v40, v39
	v_fmac_f32_e32 v40, v41, v38
	v_fma_f32 v21, -v21, v40, v39
	v_div_fmas_f32 v21, v21, v38, v40
	v_div_fixup_f32 v20, v21, s54, v20
	v_add_f32_e32 v54, v20, v20
	v_cndmask_b32_e64 v55, v54, 1.0, s[6:7]
	v_cmp_eq_f32_e32 vcc, 0, v55
	v_cndmask_b32_e64 v56, |v8|, 1.0, vcc
	v_frexp_mant_f32_e32 v20, v56
	v_cmp_gt_f32_e64 s[8:9], s55, v20
	v_cndmask_b32_e64 v21, 1.0, 2.0, s[8:9]
	v_mul_f32_e32 v20, v20, v21
	v_add_f32_e32 v39, 1.0, v20
	v_rcp_f32_e32 v44, v39
	v_add_f32_e32 v21, -1.0, v20
	v_add_f32_e32 v38, -1.0, v39
	v_sub_f32_e32 v20, v20, v38
	v_mul_f32_e32 v45, v21, v44
	v_mul_f32_e32 v38, v39, v45
	v_fma_f32 v40, v45, v39, -v38
	v_fmac_f32_e32 v40, v45, v20
	v_add_f32_e32 v20, v38, v40
	v_sub_f32_e32 v39, v21, v20
	v_pk_add_f32 v[42:43], v[20:21], v[38:39] neg_lo:[0,1] neg_hi:[0,1]
	v_mov_b32_e32 v41, v20
	v_pk_add_f32 v[20:21], v[42:43], v[40:41] neg_lo:[0,1] neg_hi:[0,1]
	v_add_f32_e32 v20, v20, v21
	v_add_f32_e32 v20, v39, v20
	v_mul_f32_e32 v21, v44, v20
	v_add_f32_e32 v20, v45, v21
	v_sub_f32_e32 v38, v20, v45
	v_sub_f32_e32 v46, v21, v38
	v_mul_f32_e32 v21, v20, v20
	v_fma_f32 v39, v20, v20, -v21
	v_add_f32_e32 v38, v46, v46
	v_fmac_f32_e32 v39, v20, v38
	v_add_f32_e32 v38, v21, v39
	v_mov_b32_e32 v40, 0x3e91f4c4
	v_fmac_f32_e32 v40, 0x3e76c4e1, v38
	v_fma_f32 v40, v38, v40, v30
	v_sub_f32_e32 v21, v38, v21
	v_sub_f32_e32 v47, v39, v21
	v_mul_f32_e32 v21, v38, v40
	v_fma_f32 v39, v38, v40, -v21
	v_fmac_f32_e32 v39, v47, v40
	v_add_f32_e32 v40, v21, v39
	v_add_f32_e32 v41, 0x3f2aaaaa, v40
	v_sub_f32_e32 v21, v40, v21
	v_sub_f32_e32 v21, v39, v21
	v_add_f32_e32 v39, 0xbf2aaaaa, v41
	v_add_f32_e32 v21, 0x31739010, v21
	v_sub_f32_e32 v39, v40, v39
	v_pk_mul_f32 v[42:43], v[20:21], v[38:39]
	v_fma_f32 v40, v38, v20, -v42
	v_pk_add_f32 v[44:45], v[20:21], v[38:39]
	v_fmac_f32_e32 v40, v38, v46
	v_mov_b32_e32 v43, v45
	v_fmac_f32_e32 v40, v47, v20
	v_pk_add_f32 v[38:39], v[42:43], v[40:41]
	v_sub_f32_e32 v21, v38, v42
	v_sub_f32_e32 v21, v40, v21
	;; [unrolled: 1-line block ×3, first 2 shown]
	v_add_f32_e32 v44, v45, v40
	v_mov_b32_e32 v40, v39
	v_pk_mul_f32 v[40:41], v[38:39], v[40:41]
	v_cvt_f64_f32_e32 v[42:43], v56
	v_frexp_exp_i32_f64_e32 v41, v[42:43]
	v_subbrev_co_u32_e64 v41, s[8:9], 0, v41, s[8:9]
	v_cvt_f32_i32_e32 v41, v41
	v_fma_f32 v42, v38, v39, -v40
	v_fmac_f32_e32 v42, v38, v44
	v_fmac_f32_e32 v42, v21, v39
	v_mul_f32_e32 v38, 0x3f317218, v41
	v_fma_f32 v44, v41, s56, -v38
	v_fmac_f32_e32 v44, 0xb102e308, v41
	v_ldexp_f32 v45, v20, 1
	v_add_f32_e32 v39, v40, v42
	v_pk_add_f32 v[20:21], v[38:39], v[44:45]
	v_ldexp_f32 v49, v46, 1
	v_mov_b32_e32 v46, v39
	v_mov_b32_e32 v47, v21
	;; [unrolled: 1-line block ×3, first 2 shown]
	v_pk_add_f32 v[40:41], v[46:47], v[40:41] neg_lo:[0,1] neg_hi:[0,1]
	v_mov_b32_e32 v43, v39
	v_pk_add_f32 v[40:41], v[42:43], v[40:41] neg_lo:[0,1] neg_hi:[0,1]
	v_add_f32_e32 v39, v49, v40
	v_add_f32_e32 v39, v39, v41
	v_pk_add_f32 v[40:41], v[20:21], v[38:39] neg_lo:[0,1] neg_hi:[0,1]
	v_pk_add_f32 v[42:43], v[20:21], v[38:39]
	v_mov_b32_e32 v46, v40
	v_mov_b32_e32 v47, v43
	;; [unrolled: 1-line block ×3, first 2 shown]
	v_pk_add_f32 v[46:47], v[44:45], v[46:47]
	v_mov_b32_e32 v38, v47
	v_pk_add_f32 v[50:51], v[38:39], v[20:21] neg_lo:[0,1] neg_hi:[0,1]
	v_mov_b32_e32 v49, v50
	v_mov_b32_e32 v46, v43
	;; [unrolled: 1-line block ×4, first 2 shown]
	v_pk_add_f32 v[40:41], v[44:45], v[40:41] neg_lo:[0,1] neg_hi:[0,1]
	v_pk_add_f32 v[52:53], v[42:43], v[48:49] neg_lo:[0,1] neg_hi:[0,1]
	;; [unrolled: 1-line block ×3, first 2 shown]
	v_mov_b32_e32 v44, v39
	v_pk_add_f32 v[20:21], v[44:45], v[20:21] neg_lo:[0,1] neg_hi:[0,1]
	v_mov_b32_e32 v52, v40
	v_pk_add_f32 v[42:43], v[52:53], v[20:21]
	v_mov_b32_e32 v44, v43
	v_pk_add_f32 v[44:45], v[42:43], v[44:45]
	v_pk_add_f32 v[38:39], v[38:39], v[44:45]
	v_mov_b32_e32 v41, v47
	v_mov_b32_e32 v43, v38
	v_pk_add_f32 v[46:47], v[42:43], v[40:41] neg_lo:[0,1] neg_hi:[0,1]
	v_mov_b32_e32 v21, v44
	v_sub_f32_e32 v39, v42, v46
	v_pk_add_f32 v[20:21], v[20:21], v[46:47] neg_lo:[0,1] neg_hi:[0,1]
	v_sub_f32_e32 v39, v40, v39
	v_add_f32_e32 v20, v20, v39
	v_add_f32_e32 v20, v20, v21
	;; [unrolled: 1-line block ×3, first 2 shown]
	v_sub_f32_e32 v38, v21, v38
	v_sub_f32_e32 v20, v20, v38
	v_mul_f32_e32 v38, v55, v21
	v_fma_f32 v21, v55, v21, -v38
	v_fmac_f32_e32 v21, v55, v20
	v_add_f32_e32 v20, v38, v21
	v_cmp_class_f32_e64 s[8:9], v38, s57
	v_sub_f32_e32 v39, v20, v38
	v_cndmask_b32_e64 v20, v20, v38, s[8:9]
	v_cmp_eq_f32_e64 s[8:9], s59, v20
	v_cndmask_b32_e64 v38, 0, v32, s[8:9]
	v_sub_f32_e32 v21, v21, v39
	v_sub_f32_e32 v39, v20, v38
	v_mul_f32_e32 v40, 0x3fb8aa3b, v39
	v_fma_f32 v41, v39, s60, -v40
	v_rndne_f32_e32 v42, v40
	v_fmac_f32_e32 v41, 0x32a5705f, v39
	v_sub_f32_e32 v40, v40, v42
	v_add_f32_e32 v40, v40, v41
	v_exp_f32_e32 v40, v40
	v_cvt_i32_f32_e32 v41, v42
	v_cmp_neq_f32_e64 s[8:9], |v20|, s58
	v_cndmask_b32_e64 v20, 0, v21, s[8:9]
	v_cmp_ngt_f32_e64 s[8:9], s61, v39
	v_ldexp_f32 v21, v40, v41
	v_cndmask_b32_e64 v21, 0, v21, s[8:9]
	v_cmp_nlt_f32_e64 s[8:9], s59, v39
	v_add_f32_e32 v20, v38, v20
	v_cndmask_b32_e64 v21, v33, v21, s[8:9]
	v_fma_f32 v20, v21, v20, v21
	v_cmp_class_f32_e64 s[8:9], v21, s57
	v_trunc_f32_e32 v38, v55
	v_cndmask_b32_e64 v20, v20, v21, s[8:9]
	v_cndmask_b32_e64 v21, v8, 1.0, vcc
	v_cmp_eq_f32_e32 vcc, v38, v55
	v_mul_f32_e32 v38, 0.5, v55
	v_trunc_f32_e32 v39, v38
	v_cmp_neq_f32_e64 s[8:9], v39, v38
	s_and_b64 s[8:9], vcc, s[8:9]
	v_cndmask_b32_e64 v38, 1.0, v21, s[8:9]
	v_bfi_b32 v20, s62, v20, v38
	v_cndmask_b32_e32 v38, v34, v20, vcc
	v_cmp_gt_f32_e32 vcc, 0, v21
	v_cndmask_b32_e32 v20, v20, v38, vcc
	v_cndmask_b32_e64 v38, |v54|, 1.0, s[6:7]
	v_cmp_neq_f32_e32 vcc, v55, v38
	v_cmp_gt_f32_e64 s[10:11], 1.0, v56
	s_xor_b64 s[10:11], vcc, s[10:11]
	v_cndmask_b32_e64 v39, v38, 0, s[10:11]
	v_cmp_eq_f32_e32 vcc, 1.0, v56
	v_cmp_eq_f32_e64 s[10:11], 0, v21
	v_cmp_gt_f32_e64 s[12:13], 0, v55
	v_cndmask_b32_e32 v39, v39, v56, vcc
	v_cmp_eq_f32_e32 vcc, s58, v38
	s_xor_b64 s[12:13], s[12:13], s[10:11]
	v_cndmask_b32_e32 v20, v20, v39, vcc
	v_cmp_eq_f32_e32 vcc, s58, v56
	v_cndmask_b32_e64 v38, v33, 0, s[12:13]
	v_cndmask_b32_e64 v39, 0, v21, s[8:9]
	v_bfi_b32 v38, s62, v38, v39
	s_or_b64 vcc, vcc, s[10:11]
	v_cndmask_b32_e32 v20, v20, v38, vcc
	v_div_scale_f32 v38, s[8:9], v20, v20, 1.0
	v_rcp_f32_e32 v39, v38
	v_fma_f32 v40, -v38, v39, 1.0
	v_fmac_f32_e32 v39, v40, v39
	v_div_scale_f32 v40, vcc, 1.0, v20, 1.0
	v_mul_f32_e32 v41, v40, v39
	v_fma_f32 v42, -v38, v41, v40
	v_fmac_f32_e32 v41, v42, v39
	v_fma_f32 v38, -v38, v41, v40
	v_div_fmas_f32 v38, v38, v39, v41
	v_div_fixup_f32 v20, v38, v20, 1.0
	v_cmp_o_f32_e32 vcc, v21, v21
	v_cndmask_b32_e32 v20, v34, v20, vcc
	v_mul_f32_e32 v11, v11, v20
	v_fmac_f32_e32 v10, v25, v11
	s_waitcnt vmcnt(0)
	v_pk_mov_b32 v[20:21], v[18:19], v[18:19] op_sel:[0,1]
	v_mov_b32_e32 v38, v24
.LBB0_100:                              ;   in Loop: Header=BB0_101 Depth=2
	s_or_b64 exec, exec, s[48:49]
	v_add_u32_e32 v37, -1, v37
	v_cmp_eq_u32_e32 vcc, 0, v37
	s_or_b64 s[44:45], vcc, s[44:45]
	v_add_u32_e32 v9, 52, v9
	s_andn2_b64 exec, exec, s[44:45]
	s_cbranch_execz .LBB0_108
.LBB0_101:                              ;   Parent Loop BB0_65 Depth=1
                                        ; =>  This Inner Loop Header: Depth=2
	buffer_load_dword v18, v9, s[0:3], 0 offen offset:12
	s_waitcnt vmcnt(0)
	v_cmp_ge_i32_e32 vcc, v18, v7
	s_and_saveexec_b64 s[48:49], vcc
	s_cbranch_execz .LBB0_100
; %bb.102:                              ;   in Loop: Header=BB0_101 Depth=2
	buffer_load_dword v25, v9, s[0:3], 0 offen offset:48
	buffer_load_dword v24, v9, s[0:3], 0 offen
	buffer_load_dword v18, v9, s[0:3], 0 offen offset:4
	buffer_load_dword v19, v9, s[0:3], 0 offen offset:8
	s_waitcnt vmcnt(3)
	v_cmp_eq_f32_e32 vcc, -1.0, v25
	s_and_saveexec_b64 s[10:11], vcc
	s_cbranch_execz .LBB0_104
; %bb.103:                              ;   in Loop: Header=BB0_101 Depth=2
	buffer_load_dword v25, v9, s[0:3], 0 offen offset:36
	buffer_load_dword v39, v9, s[0:3], 0 offen offset:20
	;; [unrolled: 1-line block ×6, first 2 shown]
	s_waitcnt vmcnt(5)
	v_cmp_eq_u32_e32 vcc, 31, v25
	s_waitcnt vmcnt(4)
	v_cmp_gt_i32_e64 s[8:9], 30, v39
	v_sub_u32_e32 v39, 30, v39
	s_waitcnt vmcnt(2)
	v_sub_u32_e32 v41, v40, v41
	s_waitcnt vmcnt(1)
	v_not_b32_e32 v40, v42
	s_and_b64 vcc, vcc, s[8:9]
	v_min_i32_e32 v25, 30, v25
	s_waitcnt vmcnt(0)
	v_addc_co_u32_e64 v42, s[8:9], v43, v40, vcc
	v_max_i32_e32 v40, 0, v39
	v_mul_lo_u32 v39, v42, 30
	v_cndmask_b32_e64 v25, v25, 1, vcc
	v_mad_u64_u32 v[40:41], s[8:9], v41, s33, v[40:41]
	v_add3_u32 v25, v40, v25, v39
	v_cvt_f32_i32_e32 v25, v25
	v_div_scale_f32 v39, s[8:9], s54, s54, v25
	v_rcp_f32_e32 v40, v39
	v_div_scale_f32 v41, vcc, v25, s54, v25
	v_fma_f32 v42, -v39, v40, 1.0
	v_fmac_f32_e32 v40, v42, v40
	v_mul_f32_e32 v42, v41, v40
	v_fma_f32 v43, -v39, v42, v41
	v_fmac_f32_e32 v42, v43, v40
	v_fma_f32 v39, -v39, v42, v41
	v_div_fmas_f32 v39, v39, v40, v42
	v_div_fixup_f32 v25, v39, s54, v25
	buffer_load_dword v39, off, s[0:3], 0 offset:1028 ; 4-byte Folded Reload
	s_waitcnt vmcnt(0)
	v_fma_f32 v25, v39, v25, 1.0
	v_add_f32_e32 v25, -1.0, v25
	v_mul_f32_e32 v25, 0x42c80000, v25
.LBB0_104:                              ;   in Loop: Header=BB0_101 Depth=2
	s_or_b64 exec, exec, s[10:11]
	s_xor_b64 s[8:9], s[46:47], -1
	s_waitcnt vmcnt(1)
	v_cmp_eq_u32_e32 vcc, 31, v18
	v_min_i32_e32 v39, 30, v18
                                        ; implicit-def: $vgpr40
	s_and_saveexec_b64 s[10:11], s[8:9]
	s_xor_b64 s[10:11], exec, s[10:11]
	s_cbranch_execz .LBB0_106
; %bb.105:                              ;   in Loop: Header=BB0_101 Depth=2
	v_cmp_gt_i32_e64 s[8:9], 30, v20
	s_and_b64 s[8:9], vcc, s[8:9]
	v_cndmask_b32_e64 v40, 0, 1, s[8:9]
	v_not_b32_e32 v38, v38
	v_sub_u32_e32 v20, 30, v20
	s_waitcnt vmcnt(0)
	v_sub_u32_e32 v21, v19, v21
	v_add3_u32 v38, v24, v38, v40
	v_max_i32_e32 v20, 0, v20
	v_mul_lo_u32 v38, v38, 30
	v_cndmask_b32_e64 v39, v39, 1, s[8:9]
	v_mad_u64_u32 v[20:21], s[8:9], v21, s33, v[20:21]
	v_add3_u32 v40, v20, v39, v38
                                        ; implicit-def: $vgpr39
.LBB0_106:                              ;   in Loop: Header=BB0_101 Depth=2
	s_andn2_saveexec_b64 s[8:9], s[10:11]
	s_cbranch_execz .LBB0_99
; %bb.107:                              ;   in Loop: Header=BB0_101 Depth=2
	s_and_b64 s[10:11], vcc, s[4:5]
	v_cndmask_b32_e64 v20, 0, 1, s[10:11]
	s_waitcnt vmcnt(0)
	v_sub_u32_e32 v21, v19, v6
	v_add3_u32 v20, v24, v27, v20
	v_mul_lo_u32 v38, v20, 30
	v_cndmask_b32_e64 v39, v39, 1, s[10:11]
	v_mad_u64_u32 v[20:21], s[10:11], v21, s33, v[4:5]
	v_add3_u32 v40, v20, v39, v38
	s_branch .LBB0_99
.LBB0_108:                              ;   in Loop: Header=BB0_65 Depth=1
	s_or_b64 exec, exec, s[44:45]
	v_sub_f32_e32 v8, v5, v10
	v_mov_b32_e32 v9, v28
	v_mov_b32_e32 v38, v29
	;; [unrolled: 1-line block ×3, first 2 shown]
.LBB0_109:                              ;   in Loop: Header=BB0_65 Depth=1
	s_or_b64 exec, exec, s[42:43]
.LBB0_110:                              ;   in Loop: Header=BB0_65 Depth=1
	s_andn2_saveexec_b64 s[40:41], s[40:41]
	s_cbranch_execz .LBB0_63
; %bb.111:                              ;   in Loop: Header=BB0_65 Depth=1
	v_sub_f32_e32 v8, v22, v23
	v_mov_b32_e32 v37, v22
	v_fmac_f32_e32 v37, 0x3fcccccd, v8
	v_fma_f32 v8, v37, 0.5, 1.0
	v_cmp_eq_f32_e64 s[6:7], 1.0, v8
	v_mov_b32_e32 v9, 0x230
	s_mov_b64 s[44:45], -1
	s_mov_b64 s[42:43], 0
	v_mov_b32_e32 v10, 0
	v_mov_b32_e32 v11, 1.0
	v_mov_b32_e32 v36, v26
                                        ; implicit-def: $vgpr38
                                        ; implicit-def: $vgpr20_vgpr21
	s_branch .LBB0_114
.LBB0_112:                              ;   in Loop: Header=BB0_114 Depth=2
	s_or_b64 exec, exec, s[8:9]
	v_cvt_f32_i32_e32 v20, v40
	s_andn2_b64 s[44:45], s[44:45], exec
	v_div_scale_f32 v21, s[8:9], s54, s54, v20
	v_rcp_f32_e32 v38, v21
	v_div_scale_f32 v39, vcc, v20, s54, v20
	v_fma_f32 v40, -v21, v38, 1.0
	v_fmac_f32_e32 v38, v40, v38
	v_mul_f32_e32 v40, v39, v38
	v_fma_f32 v41, -v21, v40, v39
	v_fmac_f32_e32 v40, v41, v38
	v_fma_f32 v21, -v21, v40, v39
	v_div_fmas_f32 v21, v21, v38, v40
	v_div_fixup_f32 v20, v21, s54, v20
	v_add_f32_e32 v54, v20, v20
	v_cndmask_b32_e64 v55, v54, 1.0, s[6:7]
	v_cmp_eq_f32_e32 vcc, 0, v55
	v_cndmask_b32_e64 v56, |v8|, 1.0, vcc
	v_frexp_mant_f32_e32 v20, v56
	v_cmp_gt_f32_e64 s[8:9], s55, v20
	v_cndmask_b32_e64 v21, 1.0, 2.0, s[8:9]
	v_mul_f32_e32 v20, v20, v21
	v_add_f32_e32 v39, 1.0, v20
	v_rcp_f32_e32 v44, v39
	v_add_f32_e32 v21, -1.0, v20
	v_add_f32_e32 v38, -1.0, v39
	v_sub_f32_e32 v20, v20, v38
	v_mul_f32_e32 v45, v21, v44
	v_mul_f32_e32 v38, v39, v45
	v_fma_f32 v40, v45, v39, -v38
	v_fmac_f32_e32 v40, v45, v20
	v_add_f32_e32 v20, v38, v40
	v_sub_f32_e32 v39, v21, v20
	v_pk_add_f32 v[42:43], v[20:21], v[38:39] neg_lo:[0,1] neg_hi:[0,1]
	v_mov_b32_e32 v41, v20
	v_pk_add_f32 v[20:21], v[42:43], v[40:41] neg_lo:[0,1] neg_hi:[0,1]
	v_add_f32_e32 v20, v20, v21
	v_add_f32_e32 v20, v39, v20
	v_mul_f32_e32 v21, v44, v20
	v_add_f32_e32 v20, v45, v21
	v_sub_f32_e32 v38, v20, v45
	v_sub_f32_e32 v46, v21, v38
	v_mul_f32_e32 v21, v20, v20
	v_fma_f32 v39, v20, v20, -v21
	v_add_f32_e32 v38, v46, v46
	v_fmac_f32_e32 v39, v20, v38
	v_add_f32_e32 v38, v21, v39
	v_mov_b32_e32 v40, 0x3e91f4c4
	v_fmac_f32_e32 v40, 0x3e76c4e1, v38
	v_fma_f32 v40, v38, v40, v30
	v_sub_f32_e32 v21, v38, v21
	v_sub_f32_e32 v47, v39, v21
	v_mul_f32_e32 v21, v38, v40
	v_fma_f32 v39, v38, v40, -v21
	v_fmac_f32_e32 v39, v47, v40
	v_add_f32_e32 v40, v21, v39
	v_add_f32_e32 v41, 0x3f2aaaaa, v40
	v_sub_f32_e32 v21, v40, v21
	v_sub_f32_e32 v21, v39, v21
	v_add_f32_e32 v39, 0xbf2aaaaa, v41
	v_add_f32_e32 v21, 0x31739010, v21
	v_sub_f32_e32 v39, v40, v39
	v_pk_mul_f32 v[42:43], v[20:21], v[38:39]
	v_fma_f32 v40, v38, v20, -v42
	v_pk_add_f32 v[44:45], v[20:21], v[38:39]
	v_fmac_f32_e32 v40, v38, v46
	v_mov_b32_e32 v43, v45
	v_fmac_f32_e32 v40, v47, v20
	v_pk_add_f32 v[38:39], v[42:43], v[40:41]
	v_sub_f32_e32 v21, v38, v42
	v_sub_f32_e32 v21, v40, v21
	;; [unrolled: 1-line block ×3, first 2 shown]
	v_add_f32_e32 v44, v45, v40
	v_mov_b32_e32 v40, v39
	v_pk_mul_f32 v[40:41], v[38:39], v[40:41]
	v_cvt_f64_f32_e32 v[42:43], v56
	v_frexp_exp_i32_f64_e32 v41, v[42:43]
	v_subbrev_co_u32_e64 v41, s[8:9], 0, v41, s[8:9]
	v_cvt_f32_i32_e32 v41, v41
	v_fma_f32 v42, v38, v39, -v40
	v_fmac_f32_e32 v42, v38, v44
	v_fmac_f32_e32 v42, v21, v39
	v_mul_f32_e32 v38, 0x3f317218, v41
	v_fma_f32 v44, v41, s56, -v38
	v_fmac_f32_e32 v44, 0xb102e308, v41
	v_ldexp_f32 v45, v20, 1
	v_add_f32_e32 v39, v40, v42
	v_pk_add_f32 v[20:21], v[38:39], v[44:45]
	v_ldexp_f32 v49, v46, 1
	v_mov_b32_e32 v46, v39
	v_mov_b32_e32 v47, v21
	;; [unrolled: 1-line block ×3, first 2 shown]
	v_pk_add_f32 v[40:41], v[46:47], v[40:41] neg_lo:[0,1] neg_hi:[0,1]
	v_mov_b32_e32 v43, v39
	v_pk_add_f32 v[40:41], v[42:43], v[40:41] neg_lo:[0,1] neg_hi:[0,1]
	v_add_f32_e32 v39, v49, v40
	v_add_f32_e32 v39, v39, v41
	v_pk_add_f32 v[40:41], v[20:21], v[38:39] neg_lo:[0,1] neg_hi:[0,1]
	v_pk_add_f32 v[42:43], v[20:21], v[38:39]
	v_mov_b32_e32 v46, v40
	v_mov_b32_e32 v47, v43
	;; [unrolled: 1-line block ×3, first 2 shown]
	v_pk_add_f32 v[46:47], v[44:45], v[46:47]
	v_mov_b32_e32 v38, v47
	v_pk_add_f32 v[50:51], v[38:39], v[20:21] neg_lo:[0,1] neg_hi:[0,1]
	v_mov_b32_e32 v49, v50
	v_mov_b32_e32 v46, v43
	;; [unrolled: 1-line block ×4, first 2 shown]
	v_pk_add_f32 v[40:41], v[44:45], v[40:41] neg_lo:[0,1] neg_hi:[0,1]
	v_pk_add_f32 v[52:53], v[42:43], v[48:49] neg_lo:[0,1] neg_hi:[0,1]
	;; [unrolled: 1-line block ×3, first 2 shown]
	v_mov_b32_e32 v44, v39
	v_pk_add_f32 v[20:21], v[44:45], v[20:21] neg_lo:[0,1] neg_hi:[0,1]
	v_mov_b32_e32 v52, v40
	v_pk_add_f32 v[42:43], v[52:53], v[20:21]
	v_mov_b32_e32 v44, v43
	v_pk_add_f32 v[44:45], v[42:43], v[44:45]
	v_pk_add_f32 v[38:39], v[38:39], v[44:45]
	v_mov_b32_e32 v41, v47
	v_mov_b32_e32 v43, v38
	v_pk_add_f32 v[46:47], v[42:43], v[40:41] neg_lo:[0,1] neg_hi:[0,1]
	v_mov_b32_e32 v21, v44
	v_sub_f32_e32 v39, v42, v46
	v_pk_add_f32 v[20:21], v[20:21], v[46:47] neg_lo:[0,1] neg_hi:[0,1]
	v_sub_f32_e32 v39, v40, v39
	v_add_f32_e32 v20, v20, v39
	v_add_f32_e32 v20, v20, v21
	;; [unrolled: 1-line block ×3, first 2 shown]
	v_sub_f32_e32 v38, v21, v38
	v_sub_f32_e32 v20, v20, v38
	v_mul_f32_e32 v38, v55, v21
	v_fma_f32 v21, v55, v21, -v38
	v_fmac_f32_e32 v21, v55, v20
	v_add_f32_e32 v20, v38, v21
	v_cmp_class_f32_e64 s[8:9], v38, s57
	v_sub_f32_e32 v39, v20, v38
	v_cndmask_b32_e64 v20, v20, v38, s[8:9]
	v_cmp_eq_f32_e64 s[8:9], s59, v20
	v_cndmask_b32_e64 v38, 0, v32, s[8:9]
	v_sub_f32_e32 v21, v21, v39
	v_sub_f32_e32 v39, v20, v38
	v_mul_f32_e32 v40, 0x3fb8aa3b, v39
	v_fma_f32 v41, v39, s60, -v40
	v_rndne_f32_e32 v42, v40
	v_fmac_f32_e32 v41, 0x32a5705f, v39
	v_sub_f32_e32 v40, v40, v42
	v_add_f32_e32 v40, v40, v41
	v_exp_f32_e32 v40, v40
	v_cvt_i32_f32_e32 v41, v42
	v_cmp_neq_f32_e64 s[8:9], |v20|, s58
	v_cndmask_b32_e64 v20, 0, v21, s[8:9]
	v_cmp_ngt_f32_e64 s[8:9], s61, v39
	v_ldexp_f32 v21, v40, v41
	v_cndmask_b32_e64 v21, 0, v21, s[8:9]
	v_cmp_nlt_f32_e64 s[8:9], s59, v39
	v_add_f32_e32 v20, v38, v20
	v_cndmask_b32_e64 v21, v33, v21, s[8:9]
	v_fma_f32 v20, v21, v20, v21
	v_cmp_class_f32_e64 s[8:9], v21, s57
	v_trunc_f32_e32 v38, v55
	v_cndmask_b32_e64 v20, v20, v21, s[8:9]
	v_cndmask_b32_e64 v21, v8, 1.0, vcc
	v_cmp_eq_f32_e32 vcc, v38, v55
	v_mul_f32_e32 v38, 0.5, v55
	v_trunc_f32_e32 v39, v38
	v_cmp_neq_f32_e64 s[8:9], v39, v38
	s_and_b64 s[8:9], vcc, s[8:9]
	v_cndmask_b32_e64 v38, 1.0, v21, s[8:9]
	v_bfi_b32 v20, s62, v20, v38
	v_cndmask_b32_e32 v38, v34, v20, vcc
	v_cmp_gt_f32_e32 vcc, 0, v21
	v_cndmask_b32_e32 v20, v20, v38, vcc
	v_cndmask_b32_e64 v38, |v54|, 1.0, s[6:7]
	v_cmp_neq_f32_e32 vcc, v55, v38
	v_cmp_gt_f32_e64 s[10:11], 1.0, v56
	s_xor_b64 s[10:11], vcc, s[10:11]
	v_cndmask_b32_e64 v39, v38, 0, s[10:11]
	v_cmp_eq_f32_e32 vcc, 1.0, v56
	v_cmp_eq_f32_e64 s[10:11], 0, v21
	v_cmp_gt_f32_e64 s[12:13], 0, v55
	v_cndmask_b32_e32 v39, v39, v56, vcc
	v_cmp_eq_f32_e32 vcc, s58, v38
	s_xor_b64 s[12:13], s[12:13], s[10:11]
	v_cndmask_b32_e32 v20, v20, v39, vcc
	v_cmp_eq_f32_e32 vcc, s58, v56
	v_cndmask_b32_e64 v38, v33, 0, s[12:13]
	v_cndmask_b32_e64 v39, 0, v21, s[8:9]
	v_bfi_b32 v38, s62, v38, v39
	s_or_b64 vcc, vcc, s[10:11]
	v_cndmask_b32_e32 v20, v20, v38, vcc
	v_div_scale_f32 v38, s[8:9], v20, v20, 1.0
	v_rcp_f32_e32 v39, v38
	v_fma_f32 v40, -v38, v39, 1.0
	v_fmac_f32_e32 v39, v40, v39
	v_div_scale_f32 v40, vcc, 1.0, v20, 1.0
	v_mul_f32_e32 v41, v40, v39
	v_fma_f32 v42, -v38, v41, v40
	v_fmac_f32_e32 v41, v42, v39
	v_fma_f32 v38, -v38, v41, v40
	v_div_fmas_f32 v38, v38, v39, v41
	v_div_fixup_f32 v20, v38, v20, 1.0
	v_cmp_o_f32_e32 vcc, v21, v21
	v_cndmask_b32_e32 v20, v34, v20, vcc
	v_mul_f32_e32 v11, v11, v20
	v_fmac_f32_e32 v10, v25, v11
	s_waitcnt vmcnt(0)
	v_pk_mov_b32 v[20:21], v[18:19], v[18:19] op_sel:[0,1]
	v_mov_b32_e32 v38, v24
.LBB0_113:                              ;   in Loop: Header=BB0_114 Depth=2
	s_or_b64 exec, exec, s[46:47]
	v_add_u32_e32 v36, -1, v36
	v_cmp_eq_u32_e32 vcc, 0, v36
	s_or_b64 s[42:43], vcc, s[42:43]
	v_add_u32_e32 v9, 52, v9
	s_andn2_b64 exec, exec, s[42:43]
	s_cbranch_execz .LBB0_62
.LBB0_114:                              ;   Parent Loop BB0_65 Depth=1
                                        ; =>  This Inner Loop Header: Depth=2
	buffer_load_dword v18, v9, s[0:3], 0 offen offset:12
	s_waitcnt vmcnt(0)
	v_cmp_ge_i32_e32 vcc, v18, v7
	s_and_saveexec_b64 s[46:47], vcc
	s_cbranch_execz .LBB0_113
; %bb.115:                              ;   in Loop: Header=BB0_114 Depth=2
	buffer_load_dword v25, v9, s[0:3], 0 offen offset:48
	buffer_load_dword v24, v9, s[0:3], 0 offen
	buffer_load_dword v18, v9, s[0:3], 0 offen offset:4
	buffer_load_dword v19, v9, s[0:3], 0 offen offset:8
	s_waitcnt vmcnt(3)
	v_cmp_eq_f32_e32 vcc, -1.0, v25
	s_and_saveexec_b64 s[10:11], vcc
	s_cbranch_execz .LBB0_117
; %bb.116:                              ;   in Loop: Header=BB0_114 Depth=2
	buffer_load_dword v25, v9, s[0:3], 0 offen offset:36
	buffer_load_dword v39, v9, s[0:3], 0 offen offset:20
	;; [unrolled: 1-line block ×6, first 2 shown]
	s_waitcnt vmcnt(5)
	v_cmp_eq_u32_e32 vcc, 31, v25
	s_waitcnt vmcnt(4)
	v_cmp_gt_i32_e64 s[8:9], 30, v39
	v_sub_u32_e32 v39, 30, v39
	s_waitcnt vmcnt(2)
	v_sub_u32_e32 v41, v40, v41
	s_waitcnt vmcnt(1)
	v_not_b32_e32 v40, v42
	s_and_b64 vcc, vcc, s[8:9]
	v_min_i32_e32 v25, 30, v25
	s_waitcnt vmcnt(0)
	v_addc_co_u32_e64 v42, s[8:9], v43, v40, vcc
	v_max_i32_e32 v40, 0, v39
	v_mul_lo_u32 v39, v42, 30
	v_cndmask_b32_e64 v25, v25, 1, vcc
	v_mad_u64_u32 v[40:41], s[8:9], v41, s33, v[40:41]
	v_add3_u32 v25, v40, v25, v39
	v_cvt_f32_i32_e32 v25, v25
	v_div_scale_f32 v39, s[8:9], s54, s54, v25
	v_rcp_f32_e32 v40, v39
	v_div_scale_f32 v41, vcc, v25, s54, v25
	v_fma_f32 v42, -v39, v40, 1.0
	v_fmac_f32_e32 v40, v42, v40
	v_mul_f32_e32 v42, v41, v40
	v_fma_f32 v43, -v39, v42, v41
	v_fmac_f32_e32 v42, v43, v40
	v_fma_f32 v39, -v39, v42, v41
	v_div_fmas_f32 v39, v39, v40, v42
	v_div_fixup_f32 v25, v39, s54, v25
	buffer_load_dword v39, off, s[0:3], 0 offset:1028 ; 4-byte Folded Reload
	s_waitcnt vmcnt(0)
	v_fma_f32 v25, v39, v25, 1.0
	v_add_f32_e32 v25, -1.0, v25
	v_mul_f32_e32 v25, 0x42c80000, v25
.LBB0_117:                              ;   in Loop: Header=BB0_114 Depth=2
	s_or_b64 exec, exec, s[10:11]
	s_xor_b64 s[8:9], s[44:45], -1
	s_waitcnt vmcnt(1)
	v_cmp_eq_u32_e32 vcc, 31, v18
	v_min_i32_e32 v39, 30, v18
                                        ; implicit-def: $vgpr40
	s_and_saveexec_b64 s[10:11], s[8:9]
	s_xor_b64 s[10:11], exec, s[10:11]
	s_cbranch_execz .LBB0_119
; %bb.118:                              ;   in Loop: Header=BB0_114 Depth=2
	v_cmp_gt_i32_e64 s[8:9], 30, v20
	s_and_b64 s[8:9], vcc, s[8:9]
	v_cndmask_b32_e64 v40, 0, 1, s[8:9]
	v_not_b32_e32 v38, v38
	v_sub_u32_e32 v20, 30, v20
	s_waitcnt vmcnt(0)
	v_sub_u32_e32 v21, v19, v21
	v_add3_u32 v38, v24, v38, v40
	v_max_i32_e32 v20, 0, v20
	v_mul_lo_u32 v38, v38, 30
	v_cndmask_b32_e64 v39, v39, 1, s[8:9]
	v_mad_u64_u32 v[20:21], s[8:9], v21, s33, v[20:21]
	v_add3_u32 v40, v20, v39, v38
                                        ; implicit-def: $vgpr39
.LBB0_119:                              ;   in Loop: Header=BB0_114 Depth=2
	s_andn2_saveexec_b64 s[8:9], s[10:11]
	s_cbranch_execz .LBB0_112
; %bb.120:                              ;   in Loop: Header=BB0_114 Depth=2
	s_and_b64 s[10:11], vcc, s[4:5]
	v_cndmask_b32_e64 v20, 0, 1, s[10:11]
	s_waitcnt vmcnt(0)
	v_sub_u32_e32 v21, v19, v6
	v_add3_u32 v20, v24, v27, v20
	v_mul_lo_u32 v38, v20, 30
	v_cndmask_b32_e64 v39, v39, 1, s[10:11]
	v_mad_u64_u32 v[20:21], s[10:11], v21, s33, v[4:5]
	v_add3_u32 v40, v20, v39, v38
	s_branch .LBB0_112
.LBB0_121:
	s_or_b64 exec, exec, s[20:21]
	s_and_saveexec_b64 s[6:7], s[22:23]
	s_xor_b64 s[20:21], exec, s[6:7]
	s_cbranch_execz .LBB0_173
; %bb.122:
	s_mov_b32 s6, 0x2441b0da
	v_mul_f32_e64 v8, |v29|, s6
	v_cmp_nle_f32_e64 s[8:9], |v29|, v8
	v_cmp_neq_f32_e32 vcc, 0, v29
	s_or_b64 s[8:9], vcc, s[8:9]
	s_and_saveexec_b64 s[22:23], s[8:9]
	s_cbranch_execz .LBB0_172
; %bb.123:
	v_mul_f32_e64 v8, |v31|, s6
	v_cmp_nle_f32_e64 s[6:7], |v31|, v8
	v_cmp_neq_f32_e32 vcc, 0, v31
	s_or_b64 s[6:7], vcc, s[6:7]
	s_and_saveexec_b64 s[34:35], s[6:7]
	s_cbranch_execz .LBB0_171
; %bb.124:
	v_add_f32_e32 v8, v23, v22
	v_mul_f32_e32 v30, 0.5, v8
	v_fma_f32 v32, v30, 0.5, 1.0
	v_mov_b32_e32 v10, 1.0
	v_cmp_eq_f32_e64 s[6:7], 1.0, v32
	v_mov_b32_e32 v11, 0x230
	s_mov_b64 s[36:37], -1
	s_mov_b32 s33, -1
	s_mov_b64 s[38:39], 0
	v_mov_b32_e32 v31, 0
	s_movk_i32 s42, 0x168
	s_mov_b32 s43, 0x43b40000
	s_mov_b32 s44, 0x3f2aaaab
	v_mov_b32_e32 v8, 0x3ecccdef
	s_mov_b32 s45, 0x3f317218
	s_movk_i32 s46, 0x204
	s_mov_b32 s47, 0x7f800000
	s_mov_b32 s48, 0x42b17218
	;; [unrolled: 1-line block ×4, first 2 shown]
	s_brev_b32 s51, -2
	v_mov_b32_e32 v9, 0x37000000
	v_mov_b32_e32 v33, 0x7f800000
	;; [unrolled: 1-line block ×3, first 2 shown]
                                        ; implicit-def: $vgpr35
                                        ; implicit-def: $vgpr20_vgpr21
	s_branch .LBB0_127
.LBB0_125:                              ;   in Loop: Header=BB0_127 Depth=1
	s_or_b64 exec, exec, s[8:9]
	v_cvt_f32_i32_e32 v20, v37
	s_andn2_b64 s[36:37], s[36:37], exec
	v_div_scale_f32 v21, s[8:9], s43, s43, v20
	v_rcp_f32_e32 v35, v21
	v_div_scale_f32 v36, vcc, v20, s43, v20
	v_fma_f32 v37, -v21, v35, 1.0
	v_fmac_f32_e32 v35, v37, v35
	v_mul_f32_e32 v37, v36, v35
	v_fma_f32 v38, -v21, v37, v36
	v_fmac_f32_e32 v37, v38, v35
	v_fma_f32 v21, -v21, v37, v36
	v_div_fmas_f32 v21, v21, v35, v37
	v_div_fixup_f32 v20, v21, s43, v20
	v_add_f32_e32 v49, v20, v20
	v_cndmask_b32_e64 v52, v49, 1.0, s[6:7]
	v_cmp_eq_f32_e32 vcc, 0, v52
	v_cndmask_b32_e64 v53, |v32|, 1.0, vcc
	v_frexp_mant_f32_e32 v20, v53
	v_cmp_gt_f32_e64 s[8:9], s44, v20
	v_cndmask_b32_e64 v21, 1.0, 2.0, s[8:9]
	v_mul_f32_e32 v20, v20, v21
	v_add_f32_e32 v35, 1.0, v20
	v_rcp_f32_e32 v42, v35
	v_add_f32_e32 v21, -1.0, v20
	v_add_f32_e32 v36, -1.0, v35
	v_sub_f32_e32 v20, v20, v36
	v_mul_f32_e32 v43, v21, v42
	v_mul_f32_e32 v36, v35, v43
	v_fma_f32 v38, v43, v35, -v36
	v_fmac_f32_e32 v38, v43, v20
	v_add_f32_e32 v20, v36, v38
	v_sub_f32_e32 v37, v21, v20
	v_pk_add_f32 v[40:41], v[20:21], v[36:37] neg_lo:[0,1] neg_hi:[0,1]
	v_mov_b32_e32 v39, v20
	v_pk_add_f32 v[20:21], v[40:41], v[38:39] neg_lo:[0,1] neg_hi:[0,1]
	v_add_f32_e32 v20, v20, v21
	v_add_f32_e32 v20, v37, v20
	v_mul_f32_e32 v21, v42, v20
	v_add_f32_e32 v20, v43, v21
	v_sub_f32_e32 v35, v20, v43
	v_sub_f32_e32 v35, v21, v35
	v_mul_f32_e32 v21, v20, v20
	v_fma_f32 v37, v20, v20, -v21
	v_add_f32_e32 v36, v35, v35
	v_fmac_f32_e32 v37, v20, v36
	v_add_f32_e32 v36, v21, v37
	v_mov_b32_e32 v38, 0x3e91f4c4
	v_fmac_f32_e32 v38, 0x3e76c4e1, v36
	v_fma_f32 v38, v36, v38, v8
	v_sub_f32_e32 v21, v36, v21
	v_sub_f32_e32 v44, v37, v21
	v_mul_f32_e32 v21, v36, v38
	v_fma_f32 v37, v36, v38, -v21
	v_fmac_f32_e32 v37, v44, v38
	v_add_f32_e32 v38, v21, v37
	v_add_f32_e32 v39, 0x3f2aaaaa, v38
	v_sub_f32_e32 v21, v38, v21
	v_sub_f32_e32 v21, v37, v21
	v_add_f32_e32 v37, 0xbf2aaaaa, v39
	v_add_f32_e32 v21, 0x31739010, v21
	v_sub_f32_e32 v37, v38, v37
	v_pk_mul_f32 v[40:41], v[20:21], v[36:37]
	v_fma_f32 v38, v36, v20, -v40
	v_pk_add_f32 v[42:43], v[20:21], v[36:37]
	v_fmac_f32_e32 v38, v36, v35
	v_mov_b32_e32 v41, v43
	v_fmac_f32_e32 v38, v44, v20
	v_pk_add_f32 v[36:37], v[40:41], v[38:39]
	v_sub_f32_e32 v21, v36, v40
	v_sub_f32_e32 v21, v38, v21
	;; [unrolled: 1-line block ×3, first 2 shown]
	v_add_f32_e32 v42, v43, v38
	v_mov_b32_e32 v38, v37
	v_pk_mul_f32 v[38:39], v[36:37], v[38:39]
	v_cvt_f64_f32_e32 v[40:41], v53
	v_frexp_exp_i32_f64_e32 v39, v[40:41]
	v_subbrev_co_u32_e64 v39, s[8:9], 0, v39, s[8:9]
	v_cvt_f32_i32_e32 v39, v39
	v_fma_f32 v40, v36, v37, -v38
	v_fmac_f32_e32 v40, v36, v42
	v_fmac_f32_e32 v40, v21, v37
	v_mul_f32_e32 v36, 0x3f317218, v39
	v_fma_f32 v42, v39, s45, -v36
	v_fmac_f32_e32 v42, 0xb102e308, v39
	v_ldexp_f32 v43, v20, 1
	v_add_f32_e32 v37, v38, v40
	v_pk_add_f32 v[20:21], v[36:37], v[42:43]
	v_mov_b32_e32 v44, v37
	v_mov_b32_e32 v45, v21
	;; [unrolled: 1-line block ×3, first 2 shown]
	v_pk_add_f32 v[38:39], v[44:45], v[38:39] neg_lo:[0,1] neg_hi:[0,1]
	v_mov_b32_e32 v41, v37
	v_ldexp_f32 v35, v35, 1
	v_pk_add_f32 v[38:39], v[40:41], v[38:39] neg_lo:[0,1] neg_hi:[0,1]
	v_add_f32_e32 v35, v35, v38
	v_add_f32_e32 v37, v35, v39
	v_pk_add_f32 v[38:39], v[20:21], v[36:37] neg_lo:[0,1] neg_hi:[0,1]
	v_pk_add_f32 v[40:41], v[20:21], v[36:37]
	v_mov_b32_e32 v44, v38
	v_mov_b32_e32 v45, v41
	;; [unrolled: 1-line block ×3, first 2 shown]
	v_pk_add_f32 v[44:45], v[42:43], v[44:45]
	v_mov_b32_e32 v36, v45
	v_pk_add_f32 v[46:47], v[36:37], v[20:21] neg_lo:[0,1] neg_hi:[0,1]
	v_mov_b32_e32 v35, v46
	v_mov_b32_e32 v44, v41
	;; [unrolled: 1-line block ×4, first 2 shown]
	v_pk_add_f32 v[38:39], v[42:43], v[38:39] neg_lo:[0,1] neg_hi:[0,1]
	v_pk_add_f32 v[50:51], v[40:41], v[34:35] neg_lo:[0,1] neg_hi:[0,1]
	;; [unrolled: 1-line block ×3, first 2 shown]
	v_mov_b32_e32 v42, v37
	v_pk_add_f32 v[20:21], v[42:43], v[20:21] neg_lo:[0,1] neg_hi:[0,1]
	v_mov_b32_e32 v50, v38
	v_pk_add_f32 v[40:41], v[50:51], v[20:21]
	v_mov_b32_e32 v42, v41
	v_pk_add_f32 v[42:43], v[40:41], v[42:43]
	v_pk_add_f32 v[36:37], v[36:37], v[42:43]
	v_mov_b32_e32 v39, v45
	v_mov_b32_e32 v41, v36
	v_pk_add_f32 v[44:45], v[40:41], v[38:39] neg_lo:[0,1] neg_hi:[0,1]
	v_mov_b32_e32 v21, v42
	v_sub_f32_e32 v35, v40, v44
	v_pk_add_f32 v[20:21], v[20:21], v[44:45] neg_lo:[0,1] neg_hi:[0,1]
	v_sub_f32_e32 v35, v38, v35
	v_add_f32_e32 v20, v20, v35
	v_add_f32_e32 v20, v20, v21
	;; [unrolled: 1-line block ×3, first 2 shown]
	v_sub_f32_e32 v35, v21, v36
	v_sub_f32_e32 v20, v20, v35
	v_mul_f32_e32 v35, v52, v21
	v_fma_f32 v21, v52, v21, -v35
	v_fmac_f32_e32 v21, v52, v20
	v_add_f32_e32 v20, v35, v21
	v_cmp_class_f32_e64 s[8:9], v35, s46
	v_sub_f32_e32 v36, v20, v35
	v_cndmask_b32_e64 v20, v20, v35, s[8:9]
	v_cmp_eq_f32_e64 s[8:9], s48, v20
	v_cndmask_b32_e64 v35, 0, v9, s[8:9]
	v_sub_f32_e32 v21, v21, v36
	v_sub_f32_e32 v36, v20, v35
	v_mul_f32_e32 v37, 0x3fb8aa3b, v36
	v_fma_f32 v38, v36, s49, -v37
	v_rndne_f32_e32 v39, v37
	v_fmac_f32_e32 v38, 0x32a5705f, v36
	v_sub_f32_e32 v37, v37, v39
	v_add_f32_e32 v37, v37, v38
	v_exp_f32_e32 v37, v37
	v_cvt_i32_f32_e32 v38, v39
	v_cmp_neq_f32_e64 s[8:9], |v20|, s47
	v_cndmask_b32_e64 v20, 0, v21, s[8:9]
	v_cmp_ngt_f32_e64 s[8:9], s50, v36
	v_ldexp_f32 v21, v37, v38
	v_cndmask_b32_e64 v21, 0, v21, s[8:9]
	v_cmp_nlt_f32_e64 s[8:9], s48, v36
	v_add_f32_e32 v20, v35, v20
	v_cndmask_b32_e64 v21, v33, v21, s[8:9]
	v_fma_f32 v20, v21, v20, v21
	v_cmp_class_f32_e64 s[8:9], v21, s46
	v_trunc_f32_e32 v35, v52
	v_cndmask_b32_e64 v20, v20, v21, s[8:9]
	v_cndmask_b32_e64 v21, v32, 1.0, vcc
	v_cmp_eq_f32_e32 vcc, v35, v52
	v_mul_f32_e32 v35, 0.5, v52
	v_trunc_f32_e32 v36, v35
	v_cmp_neq_f32_e64 s[8:9], v36, v35
	s_and_b64 s[8:9], vcc, s[8:9]
	v_cndmask_b32_e64 v35, 1.0, v21, s[8:9]
	v_bfi_b32 v20, s51, v20, v35
	v_cndmask_b32_e32 v35, v34, v20, vcc
	v_cmp_gt_f32_e32 vcc, 0, v21
	v_cndmask_b32_e32 v20, v20, v35, vcc
	v_cndmask_b32_e64 v35, |v49|, 1.0, s[6:7]
	v_cmp_neq_f32_e32 vcc, v52, v35
	v_cmp_gt_f32_e64 s[10:11], 1.0, v53
	s_xor_b64 s[10:11], vcc, s[10:11]
	v_cndmask_b32_e64 v36, v35, 0, s[10:11]
	v_cmp_eq_f32_e32 vcc, 1.0, v53
	v_cmp_eq_f32_e64 s[10:11], 0, v21
	v_cmp_gt_f32_e64 s[12:13], 0, v52
	v_cndmask_b32_e32 v36, v36, v53, vcc
	v_cmp_eq_f32_e32 vcc, s47, v35
	s_xor_b64 s[12:13], s[12:13], s[10:11]
	v_cndmask_b32_e32 v20, v20, v36, vcc
	v_cmp_eq_f32_e32 vcc, s47, v53
	v_cndmask_b32_e64 v35, v33, 0, s[12:13]
	v_cndmask_b32_e64 v36, 0, v21, s[8:9]
	v_bfi_b32 v35, s51, v35, v36
	s_or_b64 vcc, vcc, s[10:11]
	v_cndmask_b32_e32 v20, v20, v35, vcc
	v_div_scale_f32 v35, s[8:9], v20, v20, 1.0
	v_rcp_f32_e32 v36, v35
	v_fma_f32 v37, -v35, v36, 1.0
	v_fmac_f32_e32 v36, v37, v36
	v_div_scale_f32 v37, vcc, 1.0, v20, 1.0
	v_mul_f32_e32 v38, v37, v36
	v_fma_f32 v39, -v35, v38, v37
	v_fmac_f32_e32 v38, v39, v36
	v_fma_f32 v35, -v35, v38, v37
	v_div_fmas_f32 v35, v35, v36, v38
	v_div_fixup_f32 v20, v35, v20, 1.0
	v_cmp_o_f32_e32 vcc, v21, v21
	v_cndmask_b32_e32 v20, v34, v20, vcc
	v_mul_f32_e32 v10, v10, v20
	v_fmac_f32_e32 v31, v25, v10
	s_waitcnt vmcnt(0)
	v_pk_mov_b32 v[20:21], v[18:19], v[18:19] op_sel:[0,1]
	v_mov_b32_e32 v35, v24
.LBB0_126:                              ;   in Loop: Header=BB0_127 Depth=1
	s_or_b64 exec, exec, s[40:41]
	s_add_i32 s33, s33, 1
	v_cmp_eq_u32_e32 vcc, s33, v48
	s_or_b64 s[38:39], vcc, s[38:39]
	v_add_u32_e32 v11, 52, v11
	s_andn2_b64 exec, exec, s[38:39]
	s_cbranch_execz .LBB0_134
.LBB0_127:                              ; =>This Inner Loop Header: Depth=1
	buffer_load_dword v18, v11, s[0:3], 0 offen offset:12
	s_waitcnt vmcnt(0)
	v_cmp_ge_i32_e32 vcc, v18, v7
	s_and_saveexec_b64 s[40:41], vcc
	s_cbranch_execz .LBB0_126
; %bb.128:                              ;   in Loop: Header=BB0_127 Depth=1
	buffer_load_dword v25, v11, s[0:3], 0 offen offset:48
	buffer_load_dword v24, v11, s[0:3], 0 offen
	buffer_load_dword v18, v11, s[0:3], 0 offen offset:4
	buffer_load_dword v19, v11, s[0:3], 0 offen offset:8
	s_waitcnt vmcnt(3)
	v_cmp_eq_f32_e32 vcc, -1.0, v25
	s_and_saveexec_b64 s[10:11], vcc
	s_cbranch_execz .LBB0_130
; %bb.129:                              ;   in Loop: Header=BB0_127 Depth=1
	buffer_load_dword v25, v11, s[0:3], 0 offen offset:36
	buffer_load_dword v36, v11, s[0:3], 0 offen offset:20
	;; [unrolled: 1-line block ×6, first 2 shown]
	s_waitcnt vmcnt(5)
	v_cmp_eq_u32_e32 vcc, 31, v25
	s_waitcnt vmcnt(4)
	v_cmp_gt_i32_e64 s[8:9], 30, v36
	v_sub_u32_e32 v36, 30, v36
	s_waitcnt vmcnt(2)
	v_sub_u32_e32 v37, v37, v38
	s_waitcnt vmcnt(1)
	v_not_b32_e32 v38, v39
	s_and_b64 vcc, vcc, s[8:9]
	v_min_i32_e32 v25, 30, v25
	s_waitcnt vmcnt(0)
	v_addc_co_u32_e64 v38, s[8:9], v40, v38, vcc
	v_max_i32_e32 v36, 0, v36
	v_mul_lo_u32 v38, v38, 30
	v_cndmask_b32_e64 v25, v25, 1, vcc
	v_mad_u64_u32 v[36:37], s[8:9], v37, s42, v[36:37]
	v_add3_u32 v25, v36, v25, v38
	v_cvt_f32_i32_e32 v25, v25
	v_div_scale_f32 v36, s[8:9], s43, s43, v25
	v_rcp_f32_e32 v37, v36
	v_div_scale_f32 v38, vcc, v25, s43, v25
	v_fma_f32 v39, -v36, v37, 1.0
	v_fmac_f32_e32 v37, v39, v37
	v_mul_f32_e32 v39, v38, v37
	v_fma_f32 v40, -v36, v39, v38
	v_fmac_f32_e32 v39, v40, v37
	v_fma_f32 v36, -v36, v39, v38
	v_div_fmas_f32 v36, v36, v37, v39
	v_div_fixup_f32 v25, v36, s43, v25
	buffer_load_dword v36, off, s[0:3], 0 offset:1028 ; 4-byte Folded Reload
	s_waitcnt vmcnt(0)
	v_fma_f32 v25, v36, v25, 1.0
	v_add_f32_e32 v25, -1.0, v25
	v_mul_f32_e32 v25, 0x42c80000, v25
.LBB0_130:                              ;   in Loop: Header=BB0_127 Depth=1
	s_or_b64 exec, exec, s[10:11]
	s_xor_b64 s[8:9], s[36:37], -1
	s_waitcnt vmcnt(1)
	v_cmp_eq_u32_e32 vcc, 31, v18
	v_min_i32_e32 v36, 30, v18
                                        ; implicit-def: $vgpr37
	s_and_saveexec_b64 s[10:11], s[8:9]
	s_xor_b64 s[10:11], exec, s[10:11]
	s_cbranch_execz .LBB0_132
; %bb.131:                              ;   in Loop: Header=BB0_127 Depth=1
	v_cmp_gt_i32_e64 s[8:9], 30, v20
	s_and_b64 s[8:9], vcc, s[8:9]
	v_cndmask_b32_e64 v37, 0, 1, s[8:9]
	v_not_b32_e32 v35, v35
	v_sub_u32_e32 v20, 30, v20
	s_waitcnt vmcnt(0)
	v_sub_u32_e32 v21, v19, v21
	v_add3_u32 v35, v24, v35, v37
	v_max_i32_e32 v20, 0, v20
	v_mul_lo_u32 v35, v35, 30
	v_cndmask_b32_e64 v36, v36, 1, s[8:9]
	v_mad_u64_u32 v[20:21], s[8:9], v21, s42, v[20:21]
	v_add3_u32 v37, v20, v36, v35
                                        ; implicit-def: $vgpr36
.LBB0_132:                              ;   in Loop: Header=BB0_127 Depth=1
	s_andn2_saveexec_b64 s[8:9], s[10:11]
	s_cbranch_execz .LBB0_125
; %bb.133:                              ;   in Loop: Header=BB0_127 Depth=1
	s_and_b64 s[10:11], vcc, s[4:5]
	v_cndmask_b32_e64 v20, 0, 1, s[10:11]
	s_waitcnt vmcnt(0)
	v_sub_u32_e32 v21, v19, v6
	v_add3_u32 v20, v24, v27, v20
	v_mul_lo_u32 v35, v20, 30
	v_cndmask_b32_e64 v36, v36, 1, s[10:11]
	v_mad_u64_u32 v[20:21], s[10:11], v21, s42, v[4:5]
	v_add3_u32 v37, v20, v36, v35
	s_branch .LBB0_125
.LBB0_134:
	s_or_b64 exec, exec, s[38:39]
	v_mov_b32_e32 v10, 0x230
	s_mov_b32 s33, -1
	s_mov_b64 s[36:37], 0
	v_mov_b32_e32 v8, 0
	s_movk_i32 s40, 0x168
	s_mov_b32 s41, 0x43b40000
	s_mov_b32 s42, 0x3f2aaaab
	v_mov_b32_e32 v11, 0x3ecccdef
	s_mov_b32 s43, 0x3f317218
	s_movk_i32 s44, 0x204
	s_mov_b32 s45, 0x7f800000
	s_mov_b32 s46, 0x42b17218
	;; [unrolled: 1-line block ×4, first 2 shown]
	s_brev_b32 s49, -2
	v_mov_b32_e32 v18, 0x37000000
	v_mov_b32_e32 v19, 0x7f800000
	;; [unrolled: 1-line block ×4, first 2 shown]
	s_branch .LBB0_137
.LBB0_135:                              ;   in Loop: Header=BB0_137 Depth=1
	s_or_b64 exec, exec, s[10:11]
	s_waitcnt vmcnt(1)
	v_cmp_eq_u32_e32 vcc, 31, v33
	s_and_b64 s[8:9], vcc, s[4:5]
	v_cndmask_b32_e64 v34, 0, 1, s[8:9]
	v_min_i32_e32 v33, 30, v33
	s_waitcnt vmcnt(0)
	v_sub_u32_e32 v25, v25, v6
	v_add3_u32 v24, v24, v27, v34
	v_mul_lo_u32 v34, v24, 30
	v_cndmask_b32_e64 v33, v33, 1, s[8:9]
	v_mad_u64_u32 v[24:25], s[8:9], v25, s40, v[4:5]
	v_add3_u32 v24, v24, v33, v34
	v_cvt_f32_i32_e32 v24, v24
	v_div_scale_f32 v25, s[8:9], s41, s41, v24
	v_rcp_f32_e32 v33, v25
	v_fma_f32 v34, -v25, v33, 1.0
	v_fmac_f32_e32 v33, v34, v33
	v_div_scale_f32 v34, vcc, v24, s41, v24
	v_mul_f32_e32 v35, v34, v33
	v_fma_f32 v36, -v25, v35, v34
	v_fmac_f32_e32 v35, v36, v33
	v_fma_f32 v25, -v25, v35, v34
	v_div_fmas_f32 v25, v25, v33, v35
	v_div_fixup_f32 v49, v25, s41, v24
	v_add_f32_e32 v50, v49, v49
	v_cndmask_b32_e64 v51, v50, 1.0, s[6:7]
	v_cmp_eq_f32_e32 vcc, 0, v51
	v_cndmask_b32_e64 v52, |v32|, 1.0, vcc
	v_frexp_mant_f32_e32 v24, v52
	v_cmp_gt_f32_e64 s[8:9], s42, v24
	v_cndmask_b32_e64 v25, 1.0, 2.0, s[8:9]
	v_mul_f32_e32 v24, v24, v25
	v_add_f32_e32 v33, 1.0, v24
	v_rcp_f32_e32 v40, v33
	v_add_f32_e32 v25, -1.0, v33
	v_sub_f32_e32 v35, v24, v25
	v_add_f32_e32 v25, -1.0, v24
	v_mul_f32_e32 v41, v25, v40
	v_mul_f32_e32 v34, v33, v41
	v_fma_f32 v36, v41, v33, -v34
	v_fmac_f32_e32 v36, v41, v35
	v_add_f32_e32 v24, v34, v36
	v_sub_f32_e32 v35, v25, v24
	v_pk_add_f32 v[38:39], v[24:25], v[34:35] neg_lo:[0,1] neg_hi:[0,1]
	v_mov_b32_e32 v37, v24
	v_pk_add_f32 v[24:25], v[38:39], v[36:37] neg_lo:[0,1] neg_hi:[0,1]
	v_add_f32_e32 v24, v24, v25
	v_add_f32_e32 v24, v35, v24
	v_mul_f32_e32 v25, v40, v24
	v_add_f32_e32 v24, v41, v25
	v_sub_f32_e32 v33, v24, v41
	v_sub_f32_e32 v33, v25, v33
	v_mul_f32_e32 v25, v24, v24
	v_fma_f32 v35, v24, v24, -v25
	v_add_f32_e32 v34, v33, v33
	v_fmac_f32_e32 v35, v24, v34
	v_add_f32_e32 v34, v25, v35
	v_mov_b32_e32 v36, 0x3e91f4c4
	v_fmac_f32_e32 v36, 0x3e76c4e1, v34
	v_fma_f32 v36, v34, v36, v11
	v_sub_f32_e32 v25, v34, v25
	v_sub_f32_e32 v42, v35, v25
	v_mul_f32_e32 v25, v34, v36
	v_fma_f32 v35, v34, v36, -v25
	v_fmac_f32_e32 v35, v42, v36
	v_add_f32_e32 v36, v25, v35
	v_add_f32_e32 v37, 0x3f2aaaaa, v36
	v_sub_f32_e32 v25, v36, v25
	v_sub_f32_e32 v25, v35, v25
	v_add_f32_e32 v35, 0xbf2aaaaa, v37
	v_add_f32_e32 v25, 0x31739010, v25
	v_sub_f32_e32 v35, v36, v35
	v_pk_mul_f32 v[38:39], v[24:25], v[34:35]
	v_fma_f32 v36, v34, v24, -v38
	v_pk_add_f32 v[40:41], v[24:25], v[34:35]
	v_fmac_f32_e32 v36, v34, v33
	v_mov_b32_e32 v39, v41
	v_fmac_f32_e32 v36, v42, v24
	v_pk_add_f32 v[34:35], v[38:39], v[36:37]
	v_sub_f32_e32 v25, v34, v38
	v_sub_f32_e32 v25, v36, v25
	;; [unrolled: 1-line block ×3, first 2 shown]
	v_add_f32_e32 v40, v41, v36
	v_mov_b32_e32 v36, v35
	v_pk_mul_f32 v[36:37], v[34:35], v[36:37]
	v_cvt_f64_f32_e32 v[38:39], v52
	v_frexp_exp_i32_f64_e32 v37, v[38:39]
	v_subbrev_co_u32_e64 v37, s[8:9], 0, v37, s[8:9]
	v_cvt_f32_i32_e32 v37, v37
	v_fma_f32 v38, v34, v35, -v36
	v_fmac_f32_e32 v38, v34, v40
	v_fmac_f32_e32 v38, v25, v35
	v_mul_f32_e32 v34, 0x3f317218, v37
	v_fma_f32 v40, v37, s43, -v34
	v_fmac_f32_e32 v40, 0xb102e308, v37
	v_ldexp_f32 v41, v24, 1
	v_add_f32_e32 v35, v36, v38
	v_pk_add_f32 v[24:25], v[34:35], v[40:41]
	v_mov_b32_e32 v42, v35
	v_mov_b32_e32 v43, v25
	;; [unrolled: 1-line block ×3, first 2 shown]
	v_pk_add_f32 v[36:37], v[42:43], v[36:37] neg_lo:[0,1] neg_hi:[0,1]
	v_mov_b32_e32 v39, v35
	v_ldexp_f32 v33, v33, 1
	v_pk_add_f32 v[36:37], v[38:39], v[36:37] neg_lo:[0,1] neg_hi:[0,1]
	v_add_f32_e32 v33, v33, v36
	v_add_f32_e32 v35, v33, v37
	v_pk_add_f32 v[36:37], v[24:25], v[34:35] neg_lo:[0,1] neg_hi:[0,1]
	v_pk_add_f32 v[38:39], v[24:25], v[34:35]
	v_mov_b32_e32 v42, v36
	v_mov_b32_e32 v43, v39
	;; [unrolled: 1-line block ×3, first 2 shown]
	v_pk_add_f32 v[42:43], v[40:41], v[42:43]
	v_mov_b32_e32 v34, v43
	v_pk_add_f32 v[44:45], v[34:35], v[24:25] neg_lo:[0,1] neg_hi:[0,1]
	v_mov_b32_e32 v33, v44
	v_mov_b32_e32 v42, v39
	;; [unrolled: 1-line block ×4, first 2 shown]
	v_pk_add_f32 v[36:37], v[40:41], v[36:37] neg_lo:[0,1] neg_hi:[0,1]
	v_pk_add_f32 v[46:47], v[38:39], v[32:33] neg_lo:[0,1] neg_hi:[0,1]
	;; [unrolled: 1-line block ×3, first 2 shown]
	v_mov_b32_e32 v40, v35
	v_pk_add_f32 v[24:25], v[40:41], v[24:25] neg_lo:[0,1] neg_hi:[0,1]
	v_mov_b32_e32 v46, v36
	v_pk_add_f32 v[38:39], v[46:47], v[24:25]
	v_mov_b32_e32 v40, v39
	v_pk_add_f32 v[40:41], v[38:39], v[40:41]
	v_pk_add_f32 v[34:35], v[34:35], v[40:41]
	v_mov_b32_e32 v37, v43
	v_mov_b32_e32 v39, v34
	v_pk_add_f32 v[42:43], v[38:39], v[36:37] neg_lo:[0,1] neg_hi:[0,1]
	v_mov_b32_e32 v25, v40
	v_sub_f32_e32 v33, v38, v42
	v_pk_add_f32 v[24:25], v[24:25], v[42:43] neg_lo:[0,1] neg_hi:[0,1]
	v_sub_f32_e32 v33, v36, v33
	v_add_f32_e32 v24, v24, v33
	v_add_f32_e32 v24, v24, v25
	;; [unrolled: 1-line block ×3, first 2 shown]
	v_sub_f32_e32 v33, v25, v34
	v_sub_f32_e32 v24, v24, v33
	v_mul_f32_e32 v33, v51, v25
	v_fma_f32 v25, v51, v25, -v33
	v_fmac_f32_e32 v25, v51, v24
	v_add_f32_e32 v24, v33, v25
	v_cmp_class_f32_e64 s[8:9], v33, s44
	v_sub_f32_e32 v34, v24, v33
	v_cndmask_b32_e64 v24, v24, v33, s[8:9]
	v_cmp_eq_f32_e64 s[8:9], s46, v24
	v_cndmask_b32_e64 v33, 0, v18, s[8:9]
	v_sub_f32_e32 v25, v25, v34
	v_sub_f32_e32 v34, v24, v33
	v_mul_f32_e32 v35, 0x3fb8aa3b, v34
	v_fma_f32 v36, v34, s47, -v35
	v_rndne_f32_e32 v37, v35
	v_fmac_f32_e32 v36, 0x32a5705f, v34
	v_sub_f32_e32 v35, v35, v37
	v_add_f32_e32 v35, v35, v36
	v_exp_f32_e32 v35, v35
	v_cvt_i32_f32_e32 v36, v37
	v_cmp_neq_f32_e64 s[8:9], |v24|, s45
	v_cndmask_b32_e64 v24, 0, v25, s[8:9]
	v_cmp_ngt_f32_e64 s[8:9], s48, v34
	v_ldexp_f32 v25, v35, v36
	v_cndmask_b32_e64 v25, 0, v25, s[8:9]
	v_cmp_nlt_f32_e64 s[8:9], s46, v34
	v_add_f32_e32 v24, v33, v24
	v_cndmask_b32_e64 v25, v19, v25, s[8:9]
	v_fma_f32 v24, v25, v24, v25
	v_cmp_class_f32_e64 s[8:9], v25, s44
	v_trunc_f32_e32 v33, v51
	v_cndmask_b32_e64 v24, v24, v25, s[8:9]
	v_cndmask_b32_e64 v25, v32, 1.0, vcc
	v_cmp_eq_f32_e32 vcc, v33, v51
	v_mul_f32_e32 v33, 0.5, v51
	v_trunc_f32_e32 v34, v33
	v_cmp_neq_f32_e64 s[8:9], v34, v33
	s_and_b64 s[8:9], vcc, s[8:9]
	v_cndmask_b32_e64 v33, 1.0, v25, s[8:9]
	v_bfi_b32 v24, s49, v24, v33
	v_cndmask_b32_e32 v33, v20, v24, vcc
	v_cmp_gt_f32_e32 vcc, 0, v25
	v_cndmask_b32_e32 v24, v24, v33, vcc
	v_cndmask_b32_e64 v33, |v50|, 1.0, s[6:7]
	v_cmp_neq_f32_e32 vcc, v51, v33
	v_cmp_gt_f32_e64 s[10:11], 1.0, v52
	s_xor_b64 s[10:11], vcc, s[10:11]
	v_cndmask_b32_e64 v34, v33, 0, s[10:11]
	v_cmp_eq_f32_e32 vcc, 1.0, v52
	v_cmp_eq_f32_e64 s[10:11], 0, v25
	v_cmp_gt_f32_e64 s[12:13], 0, v51
	v_cndmask_b32_e32 v34, v34, v52, vcc
	v_cmp_eq_f32_e32 vcc, s45, v33
	s_xor_b64 s[12:13], s[12:13], s[10:11]
	v_cndmask_b32_e32 v24, v24, v34, vcc
	v_cmp_eq_f32_e32 vcc, s45, v52
	v_cndmask_b32_e64 v33, v19, 0, s[12:13]
	v_cndmask_b32_e64 v34, 0, v25, s[8:9]
	v_bfi_b32 v33, s49, v33, v34
	s_or_b64 vcc, vcc, s[10:11]
	v_cndmask_b32_e32 v24, v24, v33, vcc
	v_div_scale_f32 v33, s[8:9], v24, v24, 1.0
	v_rcp_f32_e32 v34, v33
	v_fma_f32 v35, -v33, v34, 1.0
	v_fmac_f32_e32 v34, v35, v34
	v_div_scale_f32 v35, vcc, 1.0, v24, 1.0
	v_mul_f32_e32 v36, v35, v34
	v_fma_f32 v37, -v33, v36, v35
	v_fmac_f32_e32 v36, v37, v34
	v_fma_f32 v33, -v33, v36, v35
	v_div_fmas_f32 v33, v33, v34, v36
	v_div_fixup_f32 v24, v33, v24, 1.0
	v_cmp_o_f32_e32 vcc, v25, v25
	v_cndmask_b32_e32 v24, v20, v24, vcc
	v_mul_f32_e32 v25, v49, v21
	v_mul_f32_e32 v25, v24, v25
	v_div_scale_f32 v33, s[8:9], v32, v32, v25
	v_rcp_f32_e32 v34, v33
	v_fmac_f32_e32 v8, v24, v21
	v_fma_f32 v21, -v33, v34, 1.0
	v_fmac_f32_e32 v34, v21, v34
	v_div_scale_f32 v21, vcc, v25, v32, v25
	v_mul_f32_e32 v24, v21, v34
	v_fma_f32 v35, -v33, v24, v21
	v_fmac_f32_e32 v24, v35, v34
	v_fma_f32 v21, -v33, v24, v21
	v_div_fmas_f32 v21, v21, v34, v24
	v_div_fixup_f32 v21, v21, v32, v25
	v_sub_f32_e32 v9, v9, v21
.LBB0_136:                              ;   in Loop: Header=BB0_137 Depth=1
	s_or_b64 exec, exec, s[38:39]
	s_add_i32 s33, s33, 1
	v_cmp_eq_u32_e32 vcc, s33, v48
	s_or_b64 s[36:37], vcc, s[36:37]
	v_add_u32_e32 v10, 52, v10
	s_andn2_b64 exec, exec, s[36:37]
	s_cbranch_execz .LBB0_140
.LBB0_137:                              ; =>This Inner Loop Header: Depth=1
	buffer_load_dword v21, v10, s[0:3], 0 offen offset:12
	s_waitcnt vmcnt(0)
	v_cmp_ge_i32_e32 vcc, v21, v7
	s_and_saveexec_b64 s[38:39], vcc
	s_cbranch_execz .LBB0_136
; %bb.138:                              ;   in Loop: Header=BB0_137 Depth=1
	buffer_load_dword v21, v10, s[0:3], 0 offen offset:48
	buffer_load_dword v24, v10, s[0:3], 0 offen
	buffer_load_dword v33, v10, s[0:3], 0 offen offset:4
	buffer_load_dword v25, v10, s[0:3], 0 offen offset:8
	s_waitcnt vmcnt(3)
	v_cmp_eq_f32_e32 vcc, -1.0, v21
	s_and_saveexec_b64 s[10:11], vcc
	s_cbranch_execz .LBB0_135
; %bb.139:                              ;   in Loop: Header=BB0_137 Depth=1
	buffer_load_dword v21, v10, s[0:3], 0 offen offset:36
	buffer_load_dword v34, v10, s[0:3], 0 offen offset:20
	buffer_load_dword v35, v10, s[0:3], 0 offen offset:40
	buffer_load_dword v36, v10, s[0:3], 0 offen offset:24
	buffer_load_dword v37, v10, s[0:3], 0 offen offset:16
	buffer_load_dword v38, v10, s[0:3], 0 offen offset:32
	s_waitcnt vmcnt(5)
	v_cmp_eq_u32_e32 vcc, 31, v21
	s_waitcnt vmcnt(4)
	v_cmp_gt_i32_e64 s[8:9], 30, v34
	v_sub_u32_e32 v34, 30, v34
	s_waitcnt vmcnt(2)
	v_sub_u32_e32 v35, v35, v36
	s_waitcnt vmcnt(1)
	v_not_b32_e32 v36, v37
	s_and_b64 vcc, vcc, s[8:9]
	v_min_i32_e32 v21, 30, v21
	s_waitcnt vmcnt(0)
	v_addc_co_u32_e64 v36, s[8:9], v38, v36, vcc
	v_max_i32_e32 v34, 0, v34
	v_mul_lo_u32 v36, v36, 30
	v_cndmask_b32_e64 v21, v21, 1, vcc
	v_mad_u64_u32 v[34:35], s[8:9], v35, s40, v[34:35]
	v_add3_u32 v21, v34, v21, v36
	v_cvt_f32_i32_e32 v21, v21
	v_div_scale_f32 v34, s[8:9], s41, s41, v21
	v_rcp_f32_e32 v35, v34
	v_div_scale_f32 v36, vcc, v21, s41, v21
	v_fma_f32 v37, -v34, v35, 1.0
	v_fmac_f32_e32 v35, v37, v35
	v_mul_f32_e32 v37, v36, v35
	v_fma_f32 v38, -v34, v37, v36
	v_fmac_f32_e32 v37, v38, v35
	v_fma_f32 v34, -v34, v37, v36
	v_div_fmas_f32 v34, v34, v35, v37
	v_div_fixup_f32 v21, v34, s41, v21
	buffer_load_dword v34, off, s[0:3], 0 offset:1028 ; 4-byte Folded Reload
	s_waitcnt vmcnt(0)
	v_fma_f32 v21, v34, v21, 1.0
	v_add_f32_e32 v21, -1.0, v21
	v_mul_f32_e32 v21, 0x42c80000, v21
	s_branch .LBB0_135
.LBB0_140:
	s_or_b64 exec, exec, s[36:37]
	v_cmp_neq_f32_e32 vcc, 0, v8
	v_mov_b32_e32 v18, 0
	s_and_saveexec_b64 s[6:7], vcc
; %bb.141:
	v_div_scale_f32 v10, s[8:9], v8, v8, -v9
	v_rcp_f32_e32 v11, v10
	v_div_scale_f32 v18, vcc, -v9, v8, -v9
	v_fma_f32 v19, -v10, v11, 1.0
	v_fmac_f32_e32 v11, v19, v11
	v_mul_f32_e32 v19, v18, v11
	v_fma_f32 v20, -v10, v19, v18
	v_fmac_f32_e32 v19, v20, v11
	v_fma_f32 v10, -v10, v19, v18
	v_div_fmas_f32 v10, v10, v11, v19
	v_div_fixup_f32 v18, v10, v8, -v9
; %bb.142:
	s_or_b64 exec, exec, s[6:7]
	s_movk_i32 s6, 0x64
	v_cmp_ne_u32_e32 vcc, s6, v28
	s_and_saveexec_b64 s[36:37], vcc
	s_cbranch_execz .LBB0_170
; %bb.143:
	v_cmp_gt_f32_e32 vcc, 0, v29
	v_sub_f32_e32 v32, v23, v22
	v_cndmask_b32_e32 v29, v23, v22, vcc
	v_sub_f32_e32 v21, v5, v31
	v_cndmask_b32_e32 v31, v22, v23, vcc
	s_mov_b64 s[38:39], 0
	v_mov_b32_e32 v19, 2.0
	s_brev_b32 s33, -2
	s_mov_b32 s48, 0x322bcc77
	s_movk_i32 s49, 0x168
	s_mov_b32 s50, 0x43b40000
	s_mov_b32 s51, 0x3f2aaaab
	v_mov_b32_e32 v33, 0x3ecccdef
	s_mov_b32 s52, 0x3f317218
	s_movk_i32 s53, 0x204
	s_mov_b32 s54, 0x7f800000
	s_mov_b32 s55, 0x42b17218
	;; [unrolled: 1-line block ×4, first 2 shown]
	s_movk_i32 s58, 0x62
	v_mov_b32_e32 v34, 0x37000000
	v_mov_b32_e32 v35, 0x7f800000
	;; [unrolled: 1-line block ×4, first 2 shown]
	s_branch .LBB0_146
.LBB0_144:                              ;   in Loop: Header=BB0_146 Depth=1
	s_or_b64 exec, exec, s[6:7]
	v_sub_f32_e32 v21, v5, v38
	v_cmp_gt_f32_e32 vcc, 0, v21
	v_add_u32_e32 v8, 1, v28
	v_cndmask_b32_e32 v29, v29, v30, vcc
	v_cndmask_b32_e32 v31, v30, v31, vcc
	v_cmp_lt_i32_e32 vcc, s58, v28
	s_orn2_b64 s[6:7], vcc, exec
	v_mov_b32_e32 v28, v8
.LBB0_145:                              ;   in Loop: Header=BB0_146 Depth=1
	s_or_b64 exec, exec, s[40:41]
	s_and_b64 s[6:7], exec, s[6:7]
	v_mov_b32_e32 v20, v32
	s_or_b64 s[38:39], s[6:7], s[38:39]
	v_mov_b32_e32 v32, v37
	s_andn2_b64 exec, exec, s[38:39]
	s_cbranch_execz .LBB0_169
.LBB0_146:                              ; =>This Loop Header: Depth=1
                                        ;     Child Loop BB0_154 Depth 2
                                        ;     Child Loop BB0_164 Depth 2
	v_sub_f32_e32 v8, v30, v31
	v_sub_f32_e32 v9, v30, v29
	v_fma_f32 v8, v18, v8, -v21
	v_fma_f32 v9, v18, v9, -v21
	v_mul_f32_e32 v8, v8, v9
	v_cmp_nlt_f32_e32 vcc, 0, v8
	v_pk_mul_f32 v[8:9], v[20:21], v[18:19]
	v_and_b32_e32 v8, 0x7fffffff, v8
	v_and_b32_e32 v9, 0x7fffffff, v9
	v_cmp_ngt_f32_e64 s[6:7], v9, v8
	s_and_b64 s[6:7], vcc, s[6:7]
                                        ; implicit-def: $vgpr37
	s_and_saveexec_b64 s[8:9], s[6:7]
	s_xor_b64 s[6:7], exec, s[8:9]
	s_cbranch_execz .LBB0_148
; %bb.147:                              ;   in Loop: Header=BB0_146 Depth=1
	v_div_scale_f32 v8, s[8:9], v18, v18, v21
	v_rcp_f32_e32 v9, v8
	v_div_scale_f32 v10, vcc, v21, v18, v21
	v_fma_f32 v11, -v8, v9, 1.0
	v_fmac_f32_e32 v9, v11, v9
	v_mul_f32_e32 v11, v10, v9
	v_fma_f32 v20, -v8, v11, v10
	v_fmac_f32_e32 v11, v20, v9
	v_fma_f32 v8, -v8, v11, v10
	v_div_fmas_f32 v8, v8, v9, v11
	v_div_fixup_f32 v37, v8, v18, v21
	v_sub_f32_e32 v30, v30, v37
.LBB0_148:                              ;   in Loop: Header=BB0_146 Depth=1
	s_andn2_saveexec_b64 s[6:7], s[6:7]
; %bb.149:                              ;   in Loop: Header=BB0_146 Depth=1
	v_sub_f32_e32 v8, v31, v29
	v_mul_f32_e32 v37, 0.5, v8
	v_fma_f32 v30, 0.5, v8, v29
; %bb.150:                              ;   in Loop: Header=BB0_146 Depth=1
	s_or_b64 exec, exec, s[6:7]
	v_cmp_nlt_f32_e64 s[8:9], |v37|, s48
	s_mov_b64 s[6:7], -1
                                        ; implicit-def: $vgpr21
	s_and_saveexec_b64 s[40:41], s[8:9]
	s_cbranch_execz .LBB0_145
; %bb.151:                              ;   in Loop: Header=BB0_146 Depth=1
	v_fma_f32 v18, v30, 0.5, 1.0
	v_cmp_eq_f32_e64 s[6:7], 1.0, v18
	v_mov_b32_e32 v8, 0x230
	s_mov_b64 s[42:43], -1
	s_mov_b32 s59, -1
	s_mov_b64 s[44:45], 0
	v_mov_b32_e32 v38, 0
	v_mov_b32_e32 v9, 1.0
                                        ; implicit-def: $vgpr24
                                        ; implicit-def: $vgpr22_vgpr23
	s_branch .LBB0_154
.LBB0_152:                              ;   in Loop: Header=BB0_154 Depth=2
	s_or_b64 exec, exec, s[8:9]
	v_cvt_f32_i32_e32 v22, v39
	s_andn2_b64 s[42:43], s[42:43], exec
	v_div_scale_f32 v23, s[8:9], s50, s50, v22
	v_rcp_f32_e32 v24, v23
	v_div_scale_f32 v25, vcc, v22, s50, v22
	v_fma_f32 v39, -v23, v24, 1.0
	v_fmac_f32_e32 v24, v39, v24
	v_mul_f32_e32 v39, v25, v24
	v_fma_f32 v40, -v23, v39, v25
	v_fmac_f32_e32 v39, v40, v24
	v_fma_f32 v23, -v23, v39, v25
	v_div_fmas_f32 v23, v23, v24, v39
	v_div_fixup_f32 v22, v23, s50, v22
	v_add_f32_e32 v49, v22, v22
	v_cndmask_b32_e64 v54, v49, 1.0, s[6:7]
	v_cmp_eq_f32_e32 vcc, 0, v54
	v_cndmask_b32_e64 v55, |v18|, 1.0, vcc
	v_frexp_mant_f32_e32 v22, v55
	v_cmp_gt_f32_e64 s[8:9], s51, v22
	v_cndmask_b32_e64 v23, 1.0, 2.0, s[8:9]
	v_mul_f32_e32 v22, v22, v23
	v_add_f32_e32 v25, 1.0, v22
	v_rcp_f32_e32 v39, v25
	v_add_f32_e32 v23, -1.0, v22
	v_add_f32_e32 v24, -1.0, v25
	v_sub_f32_e32 v22, v22, v24
	v_mul_f32_e32 v44, v23, v39
	v_mul_f32_e32 v24, v25, v44
	v_fma_f32 v40, v44, v25, -v24
	v_fmac_f32_e32 v40, v44, v22
	v_add_f32_e32 v22, v24, v40
	v_sub_f32_e32 v25, v23, v22
	v_pk_add_f32 v[42:43], v[22:23], v[24:25] neg_lo:[0,1] neg_hi:[0,1]
	v_mov_b32_e32 v41, v22
	v_pk_add_f32 v[22:23], v[42:43], v[40:41] neg_lo:[0,1] neg_hi:[0,1]
	v_add_f32_e32 v22, v22, v23
	v_add_f32_e32 v22, v25, v22
	v_mul_f32_e32 v23, v39, v22
	v_add_f32_e32 v22, v44, v23
	v_sub_f32_e32 v24, v22, v44
	v_sub_f32_e32 v39, v23, v24
	v_mul_f32_e32 v23, v22, v22
	v_fma_f32 v25, v22, v22, -v23
	v_add_f32_e32 v24, v39, v39
	v_fmac_f32_e32 v25, v22, v24
	v_add_f32_e32 v24, v23, v25
	v_mov_b32_e32 v40, 0x3e91f4c4
	v_fmac_f32_e32 v40, 0x3e76c4e1, v24
	v_fma_f32 v40, v24, v40, v33
	v_sub_f32_e32 v23, v24, v23
	v_sub_f32_e32 v46, v25, v23
	v_mul_f32_e32 v23, v24, v40
	v_fma_f32 v25, v24, v40, -v23
	v_fmac_f32_e32 v25, v46, v40
	v_add_f32_e32 v40, v23, v25
	v_add_f32_e32 v41, 0x3f2aaaaa, v40
	v_sub_f32_e32 v23, v40, v23
	v_sub_f32_e32 v23, v25, v23
	v_add_f32_e32 v25, 0xbf2aaaaa, v41
	v_add_f32_e32 v23, 0x31739010, v23
	v_sub_f32_e32 v25, v40, v25
	v_pk_mul_f32 v[42:43], v[22:23], v[24:25]
	v_fma_f32 v40, v24, v22, -v42
	v_pk_add_f32 v[44:45], v[22:23], v[24:25]
	v_fmac_f32_e32 v40, v24, v39
	v_mov_b32_e32 v43, v45
	v_fmac_f32_e32 v40, v46, v22
	v_pk_add_f32 v[24:25], v[42:43], v[40:41]
	v_sub_f32_e32 v23, v24, v42
	v_sub_f32_e32 v23, v40, v23
	;; [unrolled: 1-line block ×3, first 2 shown]
	v_add_f32_e32 v44, v45, v40
	v_mov_b32_e32 v40, v25
	v_pk_mul_f32 v[40:41], v[24:25], v[40:41]
	v_cvt_f64_f32_e32 v[42:43], v55
	v_frexp_exp_i32_f64_e32 v41, v[42:43]
	v_subbrev_co_u32_e64 v41, s[8:9], 0, v41, s[8:9]
	v_cvt_f32_i32_e32 v41, v41
	v_fma_f32 v42, v24, v25, -v40
	v_fmac_f32_e32 v42, v24, v44
	v_fmac_f32_e32 v42, v23, v25
	v_mul_f32_e32 v24, 0x3f317218, v41
	v_fma_f32 v44, v41, s52, -v24
	v_fmac_f32_e32 v44, 0xb102e308, v41
	v_ldexp_f32 v45, v22, 1
	v_add_f32_e32 v25, v40, v42
	v_pk_add_f32 v[22:23], v[24:25], v[44:45]
	v_mov_b32_e32 v46, v25
	v_mov_b32_e32 v47, v23
	v_mov_b32_e32 v41, v45
	v_pk_add_f32 v[40:41], v[46:47], v[40:41] neg_lo:[0,1] neg_hi:[0,1]
	v_mov_b32_e32 v43, v25
	v_ldexp_f32 v39, v39, 1
	v_pk_add_f32 v[40:41], v[42:43], v[40:41] neg_lo:[0,1] neg_hi:[0,1]
	v_add_f32_e32 v25, v39, v40
	v_add_f32_e32 v25, v25, v41
	v_pk_add_f32 v[40:41], v[22:23], v[24:25] neg_lo:[0,1] neg_hi:[0,1]
	v_pk_add_f32 v[42:43], v[22:23], v[24:25]
	v_mov_b32_e32 v46, v40
	v_mov_b32_e32 v47, v43
	;; [unrolled: 1-line block ×3, first 2 shown]
	v_pk_add_f32 v[46:47], v[44:45], v[46:47]
	v_mov_b32_e32 v24, v47
	v_pk_add_f32 v[50:51], v[24:25], v[22:23] neg_lo:[0,1] neg_hi:[0,1]
	v_mov_b32_e32 v39, v50
	v_mov_b32_e32 v46, v43
	;; [unrolled: 1-line block ×4, first 2 shown]
	v_pk_add_f32 v[40:41], v[44:45], v[40:41] neg_lo:[0,1] neg_hi:[0,1]
	v_pk_add_f32 v[52:53], v[42:43], v[38:39] neg_lo:[0,1] neg_hi:[0,1]
	;; [unrolled: 1-line block ×3, first 2 shown]
	v_mov_b32_e32 v44, v25
	v_pk_add_f32 v[22:23], v[44:45], v[22:23] neg_lo:[0,1] neg_hi:[0,1]
	v_mov_b32_e32 v52, v40
	v_pk_add_f32 v[42:43], v[52:53], v[22:23]
	v_mov_b32_e32 v44, v43
	v_pk_add_f32 v[44:45], v[42:43], v[44:45]
	v_pk_add_f32 v[24:25], v[24:25], v[44:45]
	v_mov_b32_e32 v41, v47
	v_mov_b32_e32 v43, v24
	v_pk_add_f32 v[46:47], v[42:43], v[40:41] neg_lo:[0,1] neg_hi:[0,1]
	v_mov_b32_e32 v23, v44
	v_sub_f32_e32 v25, v42, v46
	v_pk_add_f32 v[22:23], v[22:23], v[46:47] neg_lo:[0,1] neg_hi:[0,1]
	v_sub_f32_e32 v25, v40, v25
	v_add_f32_e32 v22, v22, v25
	v_add_f32_e32 v22, v22, v23
	;; [unrolled: 1-line block ×3, first 2 shown]
	v_sub_f32_e32 v24, v23, v24
	v_sub_f32_e32 v22, v22, v24
	v_mul_f32_e32 v24, v54, v23
	v_fma_f32 v23, v54, v23, -v24
	v_fmac_f32_e32 v23, v54, v22
	v_add_f32_e32 v22, v24, v23
	v_cmp_class_f32_e64 s[8:9], v24, s53
	v_sub_f32_e32 v25, v22, v24
	v_cndmask_b32_e64 v22, v22, v24, s[8:9]
	v_cmp_eq_f32_e64 s[8:9], s55, v22
	v_cndmask_b32_e64 v24, 0, v34, s[8:9]
	v_sub_f32_e32 v23, v23, v25
	v_sub_f32_e32 v25, v22, v24
	v_mul_f32_e32 v39, 0x3fb8aa3b, v25
	v_fma_f32 v40, v25, s56, -v39
	v_rndne_f32_e32 v41, v39
	v_fmac_f32_e32 v40, 0x32a5705f, v25
	v_sub_f32_e32 v39, v39, v41
	v_add_f32_e32 v39, v39, v40
	v_exp_f32_e32 v39, v39
	v_cvt_i32_f32_e32 v40, v41
	v_cmp_neq_f32_e64 s[8:9], |v22|, s54
	v_cndmask_b32_e64 v22, 0, v23, s[8:9]
	v_cmp_ngt_f32_e64 s[8:9], s57, v25
	v_ldexp_f32 v23, v39, v40
	v_cndmask_b32_e64 v23, 0, v23, s[8:9]
	v_cmp_nlt_f32_e64 s[8:9], s55, v25
	v_add_f32_e32 v22, v24, v22
	v_cndmask_b32_e64 v23, v35, v23, s[8:9]
	v_fma_f32 v22, v23, v22, v23
	v_cmp_class_f32_e64 s[8:9], v23, s53
	v_trunc_f32_e32 v24, v54
	v_cndmask_b32_e64 v22, v22, v23, s[8:9]
	v_cndmask_b32_e64 v23, v18, 1.0, vcc
	v_cmp_eq_f32_e32 vcc, v24, v54
	v_mul_f32_e32 v24, 0.5, v54
	v_trunc_f32_e32 v25, v24
	v_cmp_neq_f32_e64 s[8:9], v25, v24
	s_and_b64 s[8:9], vcc, s[8:9]
	v_cndmask_b32_e64 v24, 1.0, v23, s[8:9]
	v_bfi_b32 v22, s33, v22, v24
	v_cndmask_b32_e32 v24, v36, v22, vcc
	v_cmp_gt_f32_e32 vcc, 0, v23
	v_cndmask_b32_e32 v22, v22, v24, vcc
	v_cndmask_b32_e64 v24, |v49|, 1.0, s[6:7]
	v_cmp_neq_f32_e32 vcc, v54, v24
	v_cmp_gt_f32_e64 s[10:11], 1.0, v55
	s_xor_b64 s[10:11], vcc, s[10:11]
	v_cndmask_b32_e64 v25, v24, 0, s[10:11]
	v_cmp_eq_f32_e32 vcc, 1.0, v55
	v_cmp_eq_f32_e64 s[10:11], 0, v23
	v_cmp_gt_f32_e64 s[12:13], 0, v54
	v_cndmask_b32_e32 v25, v25, v55, vcc
	v_cmp_eq_f32_e32 vcc, s54, v24
	s_xor_b64 s[12:13], s[12:13], s[10:11]
	v_cndmask_b32_e32 v22, v22, v25, vcc
	v_cmp_eq_f32_e32 vcc, s54, v55
	v_cndmask_b32_e64 v24, v35, 0, s[12:13]
	v_cndmask_b32_e64 v25, 0, v23, s[8:9]
	v_bfi_b32 v24, s33, v24, v25
	s_or_b64 vcc, vcc, s[10:11]
	v_cndmask_b32_e32 v22, v22, v24, vcc
	v_div_scale_f32 v24, s[8:9], v22, v22, 1.0
	v_rcp_f32_e32 v25, v24
	v_fma_f32 v39, -v24, v25, 1.0
	v_fmac_f32_e32 v25, v39, v25
	v_div_scale_f32 v39, vcc, 1.0, v22, 1.0
	v_mul_f32_e32 v40, v39, v25
	v_fma_f32 v41, -v24, v40, v39
	v_fmac_f32_e32 v40, v41, v25
	v_fma_f32 v24, -v24, v40, v39
	v_div_fmas_f32 v24, v24, v25, v40
	v_div_fixup_f32 v22, v24, v22, 1.0
	v_cmp_o_f32_e32 vcc, v23, v23
	v_cndmask_b32_e32 v22, v36, v22, vcc
	v_mul_f32_e32 v9, v9, v22
	v_fmac_f32_e32 v38, v11, v9
	s_waitcnt vmcnt(0)
	v_pk_mov_b32 v[22:23], v[20:21], v[20:21] op_sel:[0,1]
	v_mov_b32_e32 v24, v10
.LBB0_153:                              ;   in Loop: Header=BB0_154 Depth=2
	s_or_b64 exec, exec, s[46:47]
	s_add_i32 s59, s59, 1
	v_cmp_eq_u32_e32 vcc, s59, v48
	s_or_b64 s[44:45], vcc, s[44:45]
	v_add_u32_e32 v8, 52, v8
	s_andn2_b64 exec, exec, s[44:45]
	s_cbranch_execz .LBB0_161
.LBB0_154:                              ;   Parent Loop BB0_146 Depth=1
                                        ; =>  This Inner Loop Header: Depth=2
	buffer_load_dword v10, v8, s[0:3], 0 offen offset:12
	s_waitcnt vmcnt(0)
	v_cmp_ge_i32_e32 vcc, v10, v7
	s_and_saveexec_b64 s[46:47], vcc
	s_cbranch_execz .LBB0_153
; %bb.155:                              ;   in Loop: Header=BB0_154 Depth=2
	buffer_load_dword v11, v8, s[0:3], 0 offen offset:48
	buffer_load_dword v10, v8, s[0:3], 0 offen
	buffer_load_dword v20, v8, s[0:3], 0 offen offset:4
	buffer_load_dword v21, v8, s[0:3], 0 offen offset:8
	s_waitcnt vmcnt(3)
	v_cmp_eq_f32_e32 vcc, -1.0, v11
	s_and_saveexec_b64 s[10:11], vcc
	s_cbranch_execz .LBB0_157
; %bb.156:                              ;   in Loop: Header=BB0_154 Depth=2
	buffer_load_dword v11, v8, s[0:3], 0 offen offset:36
	buffer_load_dword v25, v8, s[0:3], 0 offen offset:20
	;; [unrolled: 1-line block ×6, first 2 shown]
	s_waitcnt vmcnt(5)
	v_cmp_eq_u32_e32 vcc, 31, v11
	s_waitcnt vmcnt(4)
	v_cmp_gt_i32_e64 s[8:9], 30, v25
	v_sub_u32_e32 v25, 30, v25
	s_waitcnt vmcnt(2)
	v_sub_u32_e32 v39, v39, v40
	s_waitcnt vmcnt(1)
	v_not_b32_e32 v40, v41
	s_and_b64 vcc, vcc, s[8:9]
	v_min_i32_e32 v11, 30, v11
	s_waitcnt vmcnt(0)
	v_addc_co_u32_e64 v41, s[8:9], v42, v40, vcc
	v_max_i32_e32 v40, 0, v25
	v_mul_lo_u32 v25, v41, 30
	v_cndmask_b32_e64 v11, v11, 1, vcc
	v_mad_u64_u32 v[40:41], s[8:9], v39, s49, v[40:41]
	v_add3_u32 v11, v40, v11, v25
	v_cvt_f32_i32_e32 v11, v11
	v_div_scale_f32 v25, s[8:9], s50, s50, v11
	v_rcp_f32_e32 v39, v25
	v_div_scale_f32 v40, vcc, v11, s50, v11
	v_fma_f32 v41, -v25, v39, 1.0
	v_fmac_f32_e32 v39, v41, v39
	v_mul_f32_e32 v41, v40, v39
	v_fma_f32 v42, -v25, v41, v40
	v_fmac_f32_e32 v41, v42, v39
	v_fma_f32 v25, -v25, v41, v40
	v_div_fmas_f32 v25, v25, v39, v41
	v_div_fixup_f32 v11, v25, s50, v11
	buffer_load_dword v25, off, s[0:3], 0 offset:1028 ; 4-byte Folded Reload
	s_waitcnt vmcnt(0)
	v_fma_f32 v11, v25, v11, 1.0
	v_add_f32_e32 v11, -1.0, v11
	v_mul_f32_e32 v11, 0x42c80000, v11
.LBB0_157:                              ;   in Loop: Header=BB0_154 Depth=2
	s_or_b64 exec, exec, s[10:11]
	s_xor_b64 s[8:9], s[42:43], -1
	s_waitcnt vmcnt(1)
	v_cmp_eq_u32_e32 vcc, 31, v20
	v_min_i32_e32 v25, 30, v20
                                        ; implicit-def: $vgpr39
	s_and_saveexec_b64 s[10:11], s[8:9]
	s_xor_b64 s[10:11], exec, s[10:11]
	s_cbranch_execz .LBB0_159
; %bb.158:                              ;   in Loop: Header=BB0_154 Depth=2
	v_cmp_gt_i32_e64 s[8:9], 30, v22
	s_and_b64 s[8:9], vcc, s[8:9]
	v_cndmask_b32_e64 v39, 0, 1, s[8:9]
	v_not_b32_e32 v24, v24
	v_sub_u32_e32 v22, 30, v22
	s_waitcnt vmcnt(0)
	v_sub_u32_e32 v23, v21, v23
	v_add3_u32 v24, v10, v24, v39
	v_max_i32_e32 v22, 0, v22
	v_mul_lo_u32 v24, v24, 30
	v_cndmask_b32_e64 v25, v25, 1, s[8:9]
	v_mad_u64_u32 v[22:23], s[8:9], v23, s49, v[22:23]
	v_add3_u32 v39, v22, v25, v24
                                        ; implicit-def: $vgpr25
.LBB0_159:                              ;   in Loop: Header=BB0_154 Depth=2
	s_andn2_saveexec_b64 s[8:9], s[10:11]
	s_cbranch_execz .LBB0_152
; %bb.160:                              ;   in Loop: Header=BB0_154 Depth=2
	s_and_b64 s[10:11], vcc, s[4:5]
	v_cndmask_b32_e64 v22, 0, 1, s[10:11]
	s_waitcnt vmcnt(0)
	v_sub_u32_e32 v23, v21, v6
	v_add3_u32 v22, v10, v27, v22
	v_mul_lo_u32 v24, v22, 30
	v_cndmask_b32_e64 v25, v25, 1, s[10:11]
	v_mad_u64_u32 v[22:23], s[10:11], v23, s49, v[4:5]
	v_add3_u32 v39, v22, v25, v24
	s_branch .LBB0_152
.LBB0_161:                              ;   in Loop: Header=BB0_146 Depth=1
	s_or_b64 exec, exec, s[44:45]
	v_mov_b32_e32 v10, 0x230
	s_mov_b64 s[42:43], 0
	v_mov_b32_e32 v8, 0
	v_mov_b32_e32 v11, v26
	v_mov_b32_e32 v9, 0
	s_branch .LBB0_164
.LBB0_162:                              ;   in Loop: Header=BB0_164 Depth=2
	s_or_b64 exec, exec, s[10:11]
	s_waitcnt vmcnt(1)
	v_cmp_eq_u32_e32 vcc, 31, v23
	s_and_b64 s[8:9], vcc, s[4:5]
	v_cndmask_b32_e64 v24, 0, 1, s[8:9]
	v_min_i32_e32 v23, 30, v23
	s_waitcnt vmcnt(0)
	v_sub_u32_e32 v22, v22, v6
	v_add3_u32 v21, v21, v27, v24
	v_mul_lo_u32 v21, v21, 30
	v_cndmask_b32_e64 v24, v23, 1, s[8:9]
	v_mad_u64_u32 v[22:23], s[8:9], v22, s49, v[4:5]
	v_add3_u32 v21, v22, v24, v21
	v_cvt_f32_i32_e32 v21, v21
	v_div_scale_f32 v22, s[8:9], s50, s50, v21
	v_rcp_f32_e32 v23, v22
	v_fma_f32 v24, -v22, v23, 1.0
	v_fmac_f32_e32 v23, v24, v23
	v_div_scale_f32 v24, vcc, v21, s50, v21
	v_mul_f32_e32 v25, v24, v23
	v_fma_f32 v39, -v22, v25, v24
	v_fmac_f32_e32 v25, v39, v23
	v_fma_f32 v22, -v22, v25, v24
	v_div_fmas_f32 v22, v22, v23, v25
	v_div_fixup_f32 v39, v22, s50, v21
	v_add_f32_e32 v49, v39, v39
	v_cndmask_b32_e64 v54, v49, 1.0, s[6:7]
	v_cmp_eq_f32_e32 vcc, 0, v54
	v_cndmask_b32_e64 v55, |v18|, 1.0, vcc
	v_frexp_mant_f32_e32 v21, v55
	v_cmp_gt_f32_e64 s[8:9], s51, v21
	v_cndmask_b32_e64 v22, 1.0, 2.0, s[8:9]
	v_mul_f32_e32 v21, v21, v22
	v_add_f32_e32 v22, 1.0, v21
	v_rcp_f32_e32 v44, v22
	v_add_f32_e32 v23, -1.0, v22
	v_sub_f32_e32 v25, v21, v23
	v_add_f32_e32 v23, -1.0, v21
	v_mul_f32_e32 v21, v23, v44
	v_mul_f32_e32 v24, v22, v21
	v_fma_f32 v40, v21, v22, -v24
	v_fmac_f32_e32 v40, v21, v25
	v_add_f32_e32 v22, v24, v40
	v_sub_f32_e32 v25, v23, v22
	v_pk_add_f32 v[42:43], v[22:23], v[24:25] neg_lo:[0,1] neg_hi:[0,1]
	v_mov_b32_e32 v41, v22
	v_pk_add_f32 v[22:23], v[42:43], v[40:41] neg_lo:[0,1] neg_hi:[0,1]
	v_add_f32_e32 v22, v22, v23
	v_add_f32_e32 v22, v25, v22
	v_mul_f32_e32 v23, v44, v22
	v_add_f32_e32 v22, v21, v23
	v_sub_f32_e32 v21, v22, v21
	v_sub_f32_e32 v21, v23, v21
	v_mul_f32_e32 v23, v22, v22
	v_fma_f32 v25, v22, v22, -v23
	v_add_f32_e32 v24, v21, v21
	v_fmac_f32_e32 v25, v22, v24
	v_add_f32_e32 v24, v23, v25
	v_mov_b32_e32 v40, 0x3e91f4c4
	v_fmac_f32_e32 v40, 0x3e76c4e1, v24
	v_fma_f32 v40, v24, v40, v33
	v_sub_f32_e32 v23, v24, v23
	v_sub_f32_e32 v46, v25, v23
	v_mul_f32_e32 v23, v24, v40
	v_fma_f32 v25, v24, v40, -v23
	v_fmac_f32_e32 v25, v46, v40
	v_add_f32_e32 v40, v23, v25
	v_add_f32_e32 v41, 0x3f2aaaaa, v40
	v_sub_f32_e32 v23, v40, v23
	v_sub_f32_e32 v23, v25, v23
	v_add_f32_e32 v25, 0xbf2aaaaa, v41
	v_add_f32_e32 v23, 0x31739010, v23
	v_sub_f32_e32 v25, v40, v25
	v_pk_mul_f32 v[42:43], v[22:23], v[24:25]
	v_fma_f32 v40, v24, v22, -v42
	v_pk_add_f32 v[44:45], v[22:23], v[24:25]
	v_fmac_f32_e32 v40, v24, v21
	v_mov_b32_e32 v43, v45
	v_fmac_f32_e32 v40, v46, v22
	v_pk_add_f32 v[24:25], v[42:43], v[40:41]
	v_sub_f32_e32 v23, v24, v42
	v_sub_f32_e32 v23, v40, v23
	;; [unrolled: 1-line block ×3, first 2 shown]
	v_add_f32_e32 v44, v45, v40
	v_mov_b32_e32 v40, v25
	v_pk_mul_f32 v[40:41], v[24:25], v[40:41]
	v_cvt_f64_f32_e32 v[42:43], v55
	v_frexp_exp_i32_f64_e32 v41, v[42:43]
	v_subbrev_co_u32_e64 v41, s[8:9], 0, v41, s[8:9]
	v_cvt_f32_i32_e32 v41, v41
	v_fma_f32 v42, v24, v25, -v40
	v_fmac_f32_e32 v42, v24, v44
	v_fmac_f32_e32 v42, v23, v25
	v_mul_f32_e32 v24, 0x3f317218, v41
	v_fma_f32 v44, v41, s52, -v24
	v_fmac_f32_e32 v44, 0xb102e308, v41
	v_ldexp_f32 v45, v22, 1
	v_add_f32_e32 v25, v40, v42
	v_pk_add_f32 v[22:23], v[24:25], v[44:45]
	v_mov_b32_e32 v46, v25
	v_mov_b32_e32 v47, v23
	;; [unrolled: 1-line block ×3, first 2 shown]
	v_pk_add_f32 v[40:41], v[46:47], v[40:41] neg_lo:[0,1] neg_hi:[0,1]
	v_mov_b32_e32 v43, v25
	v_ldexp_f32 v21, v21, 1
	v_pk_add_f32 v[40:41], v[42:43], v[40:41] neg_lo:[0,1] neg_hi:[0,1]
	v_add_f32_e32 v21, v21, v40
	v_add_f32_e32 v25, v21, v41
	v_pk_add_f32 v[40:41], v[22:23], v[24:25] neg_lo:[0,1] neg_hi:[0,1]
	v_pk_add_f32 v[42:43], v[22:23], v[24:25]
	v_mov_b32_e32 v46, v40
	v_mov_b32_e32 v47, v43
	;; [unrolled: 1-line block ×3, first 2 shown]
	v_pk_add_f32 v[46:47], v[44:45], v[46:47]
	v_mov_b32_e32 v24, v47
	v_pk_add_f32 v[50:51], v[24:25], v[22:23] neg_lo:[0,1] neg_hi:[0,1]
	v_mov_b32_e32 v21, v50
	v_mov_b32_e32 v46, v43
	;; [unrolled: 1-line block ×4, first 2 shown]
	v_pk_add_f32 v[40:41], v[44:45], v[40:41] neg_lo:[0,1] neg_hi:[0,1]
	v_pk_add_f32 v[52:53], v[42:43], v[20:21] neg_lo:[0,1] neg_hi:[0,1]
	;; [unrolled: 1-line block ×3, first 2 shown]
	v_mov_b32_e32 v44, v25
	v_pk_add_f32 v[22:23], v[44:45], v[22:23] neg_lo:[0,1] neg_hi:[0,1]
	v_mov_b32_e32 v52, v40
	v_pk_add_f32 v[42:43], v[52:53], v[22:23]
	v_mov_b32_e32 v44, v43
	v_pk_add_f32 v[44:45], v[42:43], v[44:45]
	v_pk_add_f32 v[24:25], v[24:25], v[44:45]
	v_mov_b32_e32 v41, v47
	v_mov_b32_e32 v43, v24
	v_pk_add_f32 v[46:47], v[42:43], v[40:41] neg_lo:[0,1] neg_hi:[0,1]
	v_mov_b32_e32 v23, v44
	v_sub_f32_e32 v21, v42, v46
	v_pk_add_f32 v[22:23], v[22:23], v[46:47] neg_lo:[0,1] neg_hi:[0,1]
	v_sub_f32_e32 v21, v40, v21
	v_add_f32_e32 v21, v22, v21
	v_add_f32_e32 v21, v21, v23
	;; [unrolled: 1-line block ×3, first 2 shown]
	v_sub_f32_e32 v23, v22, v24
	v_sub_f32_e32 v21, v21, v23
	v_mul_f32_e32 v23, v54, v22
	v_fma_f32 v22, v54, v22, -v23
	v_fmac_f32_e32 v22, v54, v21
	v_add_f32_e32 v21, v23, v22
	v_cmp_class_f32_e64 s[8:9], v23, s53
	v_sub_f32_e32 v24, v21, v23
	v_cndmask_b32_e64 v21, v21, v23, s[8:9]
	v_cmp_eq_f32_e64 s[8:9], s55, v21
	v_cndmask_b32_e64 v23, 0, v34, s[8:9]
	v_sub_f32_e32 v22, v22, v24
	v_sub_f32_e32 v24, v21, v23
	v_mul_f32_e32 v25, 0x3fb8aa3b, v24
	v_fma_f32 v40, v24, s56, -v25
	v_rndne_f32_e32 v41, v25
	v_fmac_f32_e32 v40, 0x32a5705f, v24
	v_sub_f32_e32 v25, v25, v41
	v_add_f32_e32 v25, v25, v40
	v_exp_f32_e32 v25, v25
	v_cvt_i32_f32_e32 v40, v41
	v_cmp_neq_f32_e64 s[8:9], |v21|, s54
	v_cndmask_b32_e64 v21, 0, v22, s[8:9]
	v_cmp_ngt_f32_e64 s[8:9], s57, v24
	v_ldexp_f32 v22, v25, v40
	v_cndmask_b32_e64 v22, 0, v22, s[8:9]
	v_cmp_nlt_f32_e64 s[8:9], s55, v24
	v_add_f32_e32 v21, v23, v21
	v_cndmask_b32_e64 v22, v35, v22, s[8:9]
	v_fma_f32 v21, v22, v21, v22
	v_cmp_class_f32_e64 s[8:9], v22, s53
	v_trunc_f32_e32 v23, v54
	v_cndmask_b32_e64 v21, v21, v22, s[8:9]
	v_cndmask_b32_e64 v22, v18, 1.0, vcc
	v_cmp_eq_f32_e32 vcc, v23, v54
	v_mul_f32_e32 v23, 0.5, v54
	v_trunc_f32_e32 v24, v23
	v_cmp_neq_f32_e64 s[8:9], v24, v23
	s_and_b64 s[8:9], vcc, s[8:9]
	v_cndmask_b32_e64 v23, 1.0, v22, s[8:9]
	v_bfi_b32 v21, s33, v21, v23
	v_cndmask_b32_e32 v23, v36, v21, vcc
	v_cmp_gt_f32_e32 vcc, 0, v22
	v_cndmask_b32_e32 v21, v21, v23, vcc
	v_cndmask_b32_e64 v23, |v49|, 1.0, s[6:7]
	v_cmp_neq_f32_e32 vcc, v54, v23
	v_cmp_gt_f32_e64 s[10:11], 1.0, v55
	s_xor_b64 s[10:11], vcc, s[10:11]
	v_cndmask_b32_e64 v24, v23, 0, s[10:11]
	v_cmp_eq_f32_e32 vcc, 1.0, v55
	v_cmp_eq_f32_e64 s[10:11], 0, v22
	v_cmp_gt_f32_e64 s[12:13], 0, v54
	v_cndmask_b32_e32 v24, v24, v55, vcc
	v_cmp_eq_f32_e32 vcc, s54, v23
	s_xor_b64 s[12:13], s[12:13], s[10:11]
	v_cndmask_b32_e32 v21, v21, v24, vcc
	v_cmp_eq_f32_e32 vcc, s54, v55
	v_cndmask_b32_e64 v23, v35, 0, s[12:13]
	v_cndmask_b32_e64 v24, 0, v22, s[8:9]
	v_bfi_b32 v23, s33, v23, v24
	s_or_b64 vcc, vcc, s[10:11]
	v_cndmask_b32_e32 v21, v21, v23, vcc
	v_div_scale_f32 v23, s[8:9], v21, v21, 1.0
	v_rcp_f32_e32 v24, v23
	v_fma_f32 v25, -v23, v24, 1.0
	v_fmac_f32_e32 v24, v25, v24
	v_div_scale_f32 v25, vcc, 1.0, v21, 1.0
	v_mul_f32_e32 v40, v25, v24
	v_fma_f32 v41, -v23, v40, v25
	v_fmac_f32_e32 v40, v41, v24
	v_fma_f32 v23, -v23, v40, v25
	v_div_fmas_f32 v23, v23, v24, v40
	v_div_fixup_f32 v21, v23, v21, 1.0
	v_cmp_o_f32_e32 vcc, v22, v22
	v_cndmask_b32_e32 v21, v36, v21, vcc
	v_mul_f32_e32 v22, v39, v20
	v_mul_f32_e32 v22, v21, v22
	v_div_scale_f32 v23, s[8:9], v18, v18, v22
	v_rcp_f32_e32 v24, v23
	v_fmac_f32_e32 v8, v21, v20
	v_fma_f32 v20, -v23, v24, 1.0
	v_fmac_f32_e32 v24, v20, v24
	v_div_scale_f32 v20, vcc, v22, v18, v22
	v_mul_f32_e32 v21, v20, v24
	v_fma_f32 v25, -v23, v21, v20
	v_fmac_f32_e32 v21, v25, v24
	v_fma_f32 v20, -v23, v21, v20
	v_div_fmas_f32 v20, v20, v24, v21
	v_div_fixup_f32 v20, v20, v18, v22
	v_sub_f32_e32 v9, v9, v20
.LBB0_163:                              ;   in Loop: Header=BB0_164 Depth=2
	s_or_b64 exec, exec, s[44:45]
	v_add_u32_e32 v11, -1, v11
	v_cmp_eq_u32_e32 vcc, 0, v11
	s_or_b64 s[42:43], vcc, s[42:43]
	v_add_u32_e32 v10, 52, v10
	s_andn2_b64 exec, exec, s[42:43]
	s_cbranch_execz .LBB0_167
.LBB0_164:                              ;   Parent Loop BB0_146 Depth=1
                                        ; =>  This Inner Loop Header: Depth=2
	buffer_load_dword v20, v10, s[0:3], 0 offen offset:12
	s_waitcnt vmcnt(0)
	v_cmp_ge_i32_e32 vcc, v20, v7
	s_and_saveexec_b64 s[44:45], vcc
	s_cbranch_execz .LBB0_163
; %bb.165:                              ;   in Loop: Header=BB0_164 Depth=2
	buffer_load_dword v20, v10, s[0:3], 0 offen offset:48
	buffer_load_dword v21, v10, s[0:3], 0 offen
	buffer_load_dword v23, v10, s[0:3], 0 offen offset:4
	buffer_load_dword v22, v10, s[0:3], 0 offen offset:8
	s_waitcnt vmcnt(3)
	v_cmp_eq_f32_e32 vcc, -1.0, v20
	s_and_saveexec_b64 s[10:11], vcc
	s_cbranch_execz .LBB0_162
; %bb.166:                              ;   in Loop: Header=BB0_164 Depth=2
	buffer_load_dword v20, v10, s[0:3], 0 offen offset:36
	buffer_load_dword v24, v10, s[0:3], 0 offen offset:20
	buffer_load_dword v25, v10, s[0:3], 0 offen offset:40
	buffer_load_dword v39, v10, s[0:3], 0 offen offset:24
	buffer_load_dword v40, v10, s[0:3], 0 offen offset:16
	buffer_load_dword v41, v10, s[0:3], 0 offen offset:32
	s_waitcnt vmcnt(5)
	v_cmp_eq_u32_e32 vcc, 31, v20
	s_waitcnt vmcnt(4)
	v_cmp_gt_i32_e64 s[8:9], 30, v24
	v_min_i32_e32 v42, 30, v20
	v_sub_u32_e32 v24, 30, v24
	s_waitcnt vmcnt(1)
	v_not_b32_e32 v20, v40
	s_and_b64 vcc, vcc, s[8:9]
	v_sub_u32_e32 v25, v25, v39
	s_waitcnt vmcnt(0)
	v_addc_co_u32_e64 v39, s[8:9], v41, v20, vcc
	v_max_i32_e32 v20, 0, v24
	v_mul_lo_u32 v39, v39, 30
	v_cndmask_b32_e64 v40, v42, 1, vcc
	v_mad_u64_u32 v[24:25], s[8:9], v25, s49, v[20:21]
	v_add3_u32 v20, v24, v40, v39
	v_cvt_f32_i32_e32 v20, v20
	v_div_scale_f32 v24, s[8:9], s50, s50, v20
	v_rcp_f32_e32 v25, v24
	v_div_scale_f32 v39, vcc, v20, s50, v20
	v_fma_f32 v40, -v24, v25, 1.0
	v_fmac_f32_e32 v25, v40, v25
	v_mul_f32_e32 v40, v39, v25
	v_fma_f32 v41, -v24, v40, v39
	v_fmac_f32_e32 v40, v41, v25
	v_fma_f32 v24, -v24, v40, v39
	v_div_fmas_f32 v24, v24, v25, v40
	v_div_fixup_f32 v20, v24, s50, v20
	buffer_load_dword v24, off, s[0:3], 0 offset:1028 ; 4-byte Folded Reload
	s_waitcnt vmcnt(0)
	v_fma_f32 v20, v24, v20, 1.0
	v_add_f32_e32 v20, -1.0, v20
	v_mul_f32_e32 v20, 0x42c80000, v20
	s_branch .LBB0_162
.LBB0_167:                              ;   in Loop: Header=BB0_146 Depth=1
	s_or_b64 exec, exec, s[42:43]
	v_cmp_neq_f32_e32 vcc, 0, v8
	v_mov_b32_e32 v18, 0
	s_and_saveexec_b64 s[6:7], vcc
	s_cbranch_execz .LBB0_144
; %bb.168:                              ;   in Loop: Header=BB0_146 Depth=1
	v_div_scale_f32 v10, s[8:9], v8, v8, -v9
	v_rcp_f32_e32 v11, v10
	v_div_scale_f32 v18, vcc, -v9, v8, -v9
	v_fma_f32 v20, -v10, v11, 1.0
	v_fmac_f32_e32 v11, v20, v11
	v_mul_f32_e32 v20, v18, v11
	v_fma_f32 v21, -v10, v20, v18
	v_fmac_f32_e32 v20, v21, v11
	v_fma_f32 v10, -v10, v20, v18
	v_div_fmas_f32 v10, v10, v11, v20
	v_div_fixup_f32 v18, v10, v8, -v9
	s_branch .LBB0_144
.LBB0_169:
	s_or_b64 exec, exec, s[38:39]
.LBB0_170:
	s_or_b64 exec, exec, s[36:37]
	v_mov_b32_e32 v23, v30
.LBB0_171:
	s_or_b64 exec, exec, s[34:35]
	v_mov_b32_e32 v22, v23
.LBB0_172:
	s_or_b64 exec, exec, s[22:23]
	v_mov_b32_e32 v20, v22
.LBB0_173:
	s_or_b64 exec, exec, s[20:21]
.LBB0_174:
	s_or_b64 exec, exec, s[16:17]
	s_waitcnt lgkmcnt(0)
	v_mov_b32_e32 v5, s31
	v_add_co_u32_e32 v4, vcc, s30, v12
	v_addc_co_u32_e32 v5, vcc, v5, v13, vcc
	global_store_dword v[4:5], v20, off
	buffer_load_dword v4, off, s[0:3], 0 offset:1040 ; 4-byte Folded Reload
	s_nop 0
	buffer_load_dword v5, off, s[0:3], 0 offset:1044 ; 4-byte Folded Reload
	v_mov_b32_e32 v6, s15
	s_mov_b32 s33, -1
	s_mov_b64 s[16:17], 0
	s_movk_i32 s34, 0x168
	s_mov_b32 s35, 0x43b40000
	s_mov_b32 s36, 0x3fb8aa3b
	;; [unrolled: 1-line block ×7, first 2 shown]
	s_movk_i32 s42, 0x204
	s_brev_b32 s43, -2
	v_mov_b32_e32 v27, 0x37000000
	v_mov_b32_e32 v28, 0x7fc00000
	s_waitcnt vmcnt(0)
	v_lshlrev_b64 v[4:5], 6, v[4:5]
	v_add_co_u32_e32 v8, vcc, s14, v4
	v_addc_co_u32_e32 v9, vcc, v6, v5, vcc
	global_store_dword v[8:9], v20, off
	buffer_load_dword v24, off, s[0:3], 0 offset:1032 ; 4-byte Folded Reload
	buffer_load_dword v25, off, s[0:3], 0 offset:1036 ; 4-byte Folded Reload
	s_waitcnt vmcnt(0)
	global_load_dword v11, v[24:25], off offset:12
	global_load_dwordx2 v[18:19], v[8:9], off offset:4
	global_load_dword v22, v[8:9], off offset:60
	global_load_dwordx4 v[4:7], v[8:9], off offset:28
	s_waitcnt vmcnt(3)
	v_cmp_lt_i32_e32 vcc, v3, v11
	v_cndmask_b32_e32 v9, v17, v25, vcc
	v_cndmask_b32_e32 v8, v16, v24, vcc
	global_load_dwordx3 v[8:10], v[8:9], off
	v_max_i32_e32 v21, v3, v11
	s_waitcnt vmcnt(3)
	v_div_scale_f32 v11, s[4:5], v19, v19, v20
	v_rcp_f32_e32 v16, v11
	v_cvt_i32_f32_e32 v17, v18
	s_waitcnt vmcnt(1)
	v_cmp_gt_i32_e64 s[6:7], 30, v5
	v_not_b32_e32 v18, v4
	v_sub_u32_e32 v4, 30, v5
	v_fma_f32 v5, -v11, v16, 1.0
	v_fmac_f32_e32 v16, v5, v16
	v_div_scale_f32 v5, vcc, v20, v19, v20
	v_cmp_ne_u32_e64 s[8:9], 0, v22
	v_mul_f32_e32 v22, v5, v16
	v_fma_f32 v23, -v11, v22, v5
	v_fmac_f32_e32 v22, v23, v16
	v_fma_f32 v5, -v11, v22, v5
	v_div_fmas_f32 v5, v5, v16, v22
	v_div_fixup_f32 v5, v5, v19, v20
	v_add_f32_e32 v16, 1.0, v5
	v_max_i32_e32 v4, 0, v4
	v_cmp_eq_f32_e64 s[4:5], 1.0, v16
	v_mov_b32_e32 v5, 0x230
	v_mov_b32_e32 v11, 0
	;; [unrolled: 1-line block ×4, first 2 shown]
	s_branch .LBB0_178
.LBB0_175:                              ;   in Loop: Header=BB0_178 Depth=1
	s_or_b64 exec, exec, s[12:13]
.LBB0_176:                              ;   in Loop: Header=BB0_178 Depth=1
	s_or_b64 exec, exec, s[10:11]
	v_div_scale_f32 v29, s[10:11], v24, v24, 1.0
	v_rcp_f32_e32 v30, v29
	v_div_scale_f32 v31, vcc, 1.0, v24, 1.0
	v_fma_f32 v32, -v29, v30, 1.0
	v_fmac_f32_e32 v30, v32, v30
	v_mul_f32_e32 v32, v31, v30
	v_fma_f32 v33, -v29, v32, v31
	v_fmac_f32_e32 v32, v33, v30
	v_fma_f32 v29, -v29, v32, v31
	v_div_fmas_f32 v29, v29, v30, v32
	v_div_fixup_f32 v24, v29, v24, 1.0
	v_fmac_f32_e32 v11, v25, v24
.LBB0_177:                              ;   in Loop: Header=BB0_178 Depth=1
	s_or_b64 exec, exec, s[20:21]
	s_add_i32 s33, s33, 1
	v_cmp_eq_u32_e32 vcc, s33, v48
	s_or_b64 s[16:17], vcc, s[16:17]
	v_add_u32_e32 v5, 52, v5
	s_andn2_b64 exec, exec, s[16:17]
	s_cbranch_execz .LBB0_196
.LBB0_178:                              ; =>This Inner Loop Header: Depth=1
	buffer_load_dword v24, v5, s[0:3], 0 offen offset:12
	s_waitcnt vmcnt(0)
	v_cmp_ge_i32_e32 vcc, v24, v21
	s_and_saveexec_b64 s[20:21], vcc
	s_cbranch_execz .LBB0_177
; %bb.179:                              ;   in Loop: Header=BB0_178 Depth=1
	buffer_load_dword v25, v5, s[0:3], 0 offen offset:48
	s_waitcnt vmcnt(0)
	v_cmp_eq_f32_e32 vcc, -1.0, v25
	s_and_saveexec_b64 s[12:13], vcc
	s_cbranch_execz .LBB0_181
; %bb.180:                              ;   in Loop: Header=BB0_178 Depth=1
	buffer_load_dword v25, v5, s[0:3], 0 offen offset:36
	buffer_load_dword v29, v5, s[0:3], 0 offen offset:20
	;; [unrolled: 1-line block ×6, first 2 shown]
	s_waitcnt vmcnt(5)
	v_cmp_eq_u32_e32 vcc, 31, v25
	s_waitcnt vmcnt(4)
	v_cmp_gt_i32_e64 s[10:11], 30, v29
	v_sub_u32_e32 v29, 30, v29
	s_waitcnt vmcnt(2)
	v_sub_u32_e32 v31, v30, v31
	s_waitcnt vmcnt(1)
	v_not_b32_e32 v30, v32
	s_and_b64 vcc, vcc, s[10:11]
	v_min_i32_e32 v25, 30, v25
	s_waitcnt vmcnt(0)
	v_addc_co_u32_e64 v32, s[10:11], v33, v30, vcc
	v_max_i32_e32 v30, 0, v29
	v_mul_lo_u32 v29, v32, 30
	v_cndmask_b32_e64 v25, v25, 1, vcc
	v_mad_u64_u32 v[30:31], s[10:11], v31, s34, v[30:31]
	v_add3_u32 v25, v30, v25, v29
	v_cvt_f32_i32_e32 v25, v25
	v_div_scale_f32 v29, s[10:11], s35, s35, v25
	v_rcp_f32_e32 v30, v29
	v_div_scale_f32 v31, vcc, v25, s35, v25
	v_fma_f32 v32, -v29, v30, 1.0
	v_fmac_f32_e32 v30, v32, v30
	v_mul_f32_e32 v32, v31, v30
	v_fma_f32 v33, -v29, v32, v31
	v_fmac_f32_e32 v32, v33, v30
	v_fma_f32 v29, -v29, v32, v31
	v_div_fmas_f32 v29, v29, v30, v32
	v_div_fixup_f32 v25, v29, s35, v25
	buffer_load_dword v29, off, s[0:3], 0 offset:1028 ; 4-byte Folded Reload
	s_waitcnt vmcnt(0)
	v_fma_f32 v25, v29, v25, 1.0
	v_add_f32_e32 v25, -1.0, v25
	v_mul_f32_e32 v25, 0x42c80000, v25
.LBB0_181:                              ;   in Loop: Header=BB0_178 Depth=1
	s_or_b64 exec, exec, s[12:13]
                                        ; implicit-def: $vgpr29
	s_and_saveexec_b64 s[10:11], s[8:9]
	s_xor_b64 s[10:11], exec, s[10:11]
	s_cbranch_execz .LBB0_183
; %bb.182:                              ;   in Loop: Header=BB0_178 Depth=1
	v_sub_u32_e32 v29, v24, v7
	s_andn2_saveexec_b64 s[10:11], s[10:11]
	s_cbranch_execnz .LBB0_184
	s_branch .LBB0_185
.LBB0_183:                              ;   in Loop: Header=BB0_178 Depth=1
	s_andn2_saveexec_b64 s[10:11], s[10:11]
	s_cbranch_execz .LBB0_185
.LBB0_184:                              ;   in Loop: Header=BB0_178 Depth=1
	buffer_load_dword v24, v5, s[0:3], 0 offen offset:4
	buffer_load_dword v29, v5, s[0:3], 0 offen offset:8
	buffer_load_dword v30, v5, s[0:3], 0 offen
	s_waitcnt vmcnt(2)
	v_cmp_eq_u32_e32 vcc, 31, v24
	s_and_b64 s[12:13], vcc, s[6:7]
	v_cndmask_b32_e64 v31, 0, 1, s[12:13]
	v_min_i32_e32 v24, 30, v24
	s_waitcnt vmcnt(1)
	v_sub_u32_e32 v29, v29, v6
	s_waitcnt vmcnt(0)
	v_add3_u32 v30, v30, v18, v31
	v_cndmask_b32_e64 v24, v24, 1, s[12:13]
	v_mul_lo_u32 v32, v30, 30
	v_mad_u64_u32 v[30:31], s[12:13], v29, s34, v[4:5]
	v_add3_u32 v29, v30, v24, v32
.LBB0_185:                              ;   in Loop: Header=BB0_178 Depth=1
	s_or_b64 exec, exec, s[10:11]
	v_cvt_f32_i32_e32 v24, v29
	v_div_scale_f32 v29, s[10:11], s35, s35, v24
	v_rcp_f32_e32 v30, v29
	v_div_scale_f32 v31, vcc, v24, s35, v24
	v_fma_f32 v32, -v29, v30, 1.0
	v_fmac_f32_e32 v30, v32, v30
	v_mul_f32_e32 v32, v31, v30
	v_fma_f32 v33, -v29, v32, v31
	v_fmac_f32_e32 v32, v33, v30
	v_fma_f32 v29, -v29, v32, v31
	v_div_fmas_f32 v29, v29, v30, v32
	v_div_fixup_f32 v29, v29, s35, v24
	v_cmp_lt_i32_e32 vcc, 0, v17
                                        ; implicit-def: $vgpr24
	s_and_saveexec_b64 s[10:11], vcc
	s_xor_b64 s[22:23], exec, s[10:11]
	s_cbranch_execz .LBB0_193
; %bb.186:                              ;   in Loop: Header=BB0_178 Depth=1
	v_cmp_lt_i32_e32 vcc, 1, v17
                                        ; implicit-def: $vgpr24
	s_and_saveexec_b64 s[10:11], vcc
	s_xor_b64 s[10:11], exec, s[10:11]
	s_cbranch_execz .LBB0_190
; %bb.187:                              ;   in Loop: Header=BB0_178 Depth=1
	v_cmp_eq_u32_e32 vcc, 2, v17
	v_mov_b32_e32 v24, 0
	s_and_saveexec_b64 s[12:13], vcc
	s_cbranch_execz .LBB0_189
; %bb.188:                              ;   in Loop: Header=BB0_178 Depth=1
	v_mul_f32_e32 v24, v20, v29
	v_mul_f32_e32 v29, 0x3fb8aa3b, v24
	v_fma_f32 v30, v24, s36, -v29
	v_rndne_f32_e32 v31, v29
	v_fmac_f32_e32 v30, 0x32a5705f, v24
	v_sub_f32_e32 v29, v29, v31
	v_add_f32_e32 v29, v29, v30
	v_cvt_i32_f32_e32 v30, v31
	v_exp_f32_e32 v29, v29
	v_cmp_ngt_f32_e32 vcc, s37, v24
	v_ldexp_f32 v29, v29, v30
	v_cndmask_b32_e32 v29, 0, v29, vcc
	v_cmp_nlt_f32_e32 vcc, s38, v24
	v_cndmask_b32_e32 v24, v23, v29, vcc
.LBB0_189:                              ;   in Loop: Header=BB0_178 Depth=1
	s_or_b64 exec, exec, s[12:13]
                                        ; implicit-def: $vgpr29
.LBB0_190:                              ;   in Loop: Header=BB0_178 Depth=1
	s_andn2_saveexec_b64 s[30:31], s[10:11]
	s_cbranch_execz .LBB0_192
; %bb.191:                              ;   in Loop: Header=BB0_178 Depth=1
	v_mul_f32_e32 v46, v19, v29
	v_cndmask_b32_e64 v47, v46, 1.0, s[4:5]
	v_cmp_eq_f32_e32 vcc, 0, v47
	v_cndmask_b32_e64 v49, |v16|, 1.0, vcc
	v_frexp_mant_f32_e32 v24, v49
	v_cmp_gt_f32_e64 s[10:11], s40, v24
	v_cndmask_b32_e64 v29, 1.0, 2.0, s[10:11]
	v_mul_f32_e32 v24, v24, v29
	v_add_f32_e32 v29, 1.0, v24
	v_rcp_f32_e32 v38, v29
	v_add_f32_e32 v30, -1.0, v29
	v_add_f32_e32 v31, -1.0, v24
	v_sub_f32_e32 v30, v24, v30
	v_mul_f32_e32 v24, v31, v38
	v_mul_f32_e32 v32, v29, v24
	v_fma_f32 v34, v24, v29, -v32
	v_fmac_f32_e32 v34, v24, v30
	v_add_f32_e32 v30, v32, v34
	v_sub_f32_e32 v33, v31, v30
	v_pk_add_f32 v[36:37], v[30:31], v[32:33] neg_lo:[0,1] neg_hi:[0,1]
	v_mov_b32_e32 v35, v30
	v_pk_add_f32 v[30:31], v[36:37], v[34:35] neg_lo:[0,1] neg_hi:[0,1]
	v_add_f32_e32 v29, v30, v31
	v_add_f32_e32 v29, v33, v29
	v_mul_f32_e32 v29, v38, v29
	v_add_f32_e32 v30, v24, v29
	v_sub_f32_e32 v24, v30, v24
	v_sub_f32_e32 v29, v29, v24
	v_mul_f32_e32 v24, v30, v30
	v_fma_f32 v31, v30, v30, -v24
	v_add_f32_e32 v32, v29, v29
	v_fmac_f32_e32 v31, v30, v32
	v_add_f32_e32 v32, v24, v31
	v_mov_b32_e32 v33, 0x3e91f4c4
	v_fmac_f32_e32 v33, 0x3e76c4e1, v32
	v_fma_f32 v33, v32, v33, v22
	v_sub_f32_e32 v24, v32, v24
	v_sub_f32_e32 v24, v31, v24
	v_mul_f32_e32 v31, v32, v33
	v_fma_f32 v34, v32, v33, -v31
	v_fmac_f32_e32 v34, v24, v33
	v_add_f32_e32 v33, v31, v34
	v_add_f32_e32 v35, 0x3f2aaaaa, v33
	v_sub_f32_e32 v31, v33, v31
	v_sub_f32_e32 v31, v34, v31
	v_add_f32_e32 v34, 0xbf2aaaaa, v35
	v_add_f32_e32 v31, 0x31739010, v31
	v_sub_f32_e32 v33, v33, v34
	v_pk_mul_f32 v[36:37], v[30:31], v[32:33]
	v_fma_f32 v34, v32, v30, -v36
	v_pk_add_f32 v[38:39], v[30:31], v[32:33]
	v_fmac_f32_e32 v34, v32, v29
	v_mov_b32_e32 v37, v39
	v_fmac_f32_e32 v34, v24, v30
	v_pk_add_f32 v[32:33], v[36:37], v[34:35]
	v_sub_f32_e32 v24, v32, v36
	v_sub_f32_e32 v31, v34, v24
	v_sub_f32_e32 v24, v35, v33
	v_add_f32_e32 v38, v39, v24
	v_mov_b32_e32 v24, v33
	v_cvt_f64_f32_e32 v[36:37], v49
	v_pk_mul_f32 v[34:35], v[32:33], v[24:25]
	v_frexp_exp_i32_f64_e32 v24, v[36:37]
	v_subbrev_co_u32_e64 v24, s[10:11], 0, v24, s[10:11]
	v_cvt_f32_i32_e32 v24, v24
	v_fma_f32 v36, v32, v33, -v34
	v_fmac_f32_e32 v36, v32, v38
	v_fmac_f32_e32 v36, v31, v33
	v_mul_f32_e32 v32, 0x3f317218, v24
	v_fma_f32 v38, v24, s41, -v32
	v_fmac_f32_e32 v38, 0xb102e308, v24
	v_ldexp_f32 v39, v30, 1
	v_add_f32_e32 v33, v34, v36
	v_pk_add_f32 v[30:31], v[32:33], v[38:39]
	v_mov_b32_e32 v40, v33
	v_mov_b32_e32 v41, v31
	v_mov_b32_e32 v35, v39
	v_pk_add_f32 v[34:35], v[40:41], v[34:35] neg_lo:[0,1] neg_hi:[0,1]
	v_mov_b32_e32 v37, v33
	v_ldexp_f32 v24, v29, 1
	v_pk_add_f32 v[34:35], v[36:37], v[34:35] neg_lo:[0,1] neg_hi:[0,1]
	v_add_f32_e32 v24, v24, v34
	v_add_f32_e32 v33, v24, v35
	v_pk_add_f32 v[34:35], v[30:31], v[32:33] neg_lo:[0,1] neg_hi:[0,1]
	v_pk_add_f32 v[36:37], v[30:31], v[32:33]
	v_mov_b32_e32 v40, v34
	v_mov_b32_e32 v41, v37
	;; [unrolled: 1-line block ×3, first 2 shown]
	v_pk_add_f32 v[40:41], v[38:39], v[40:41]
	v_mov_b32_e32 v24, v41
	v_pk_add_f32 v[42:43], v[24:25], v[30:31] neg_lo:[0,1] neg_hi:[0,1]
	v_mov_b32_e32 v29, v42
	v_mov_b32_e32 v40, v37
	;; [unrolled: 1-line block ×4, first 2 shown]
	v_pk_add_f32 v[34:35], v[38:39], v[34:35] neg_lo:[0,1] neg_hi:[0,1]
	v_pk_add_f32 v[44:45], v[36:37], v[28:29] neg_lo:[0,1] neg_hi:[0,1]
	;; [unrolled: 1-line block ×3, first 2 shown]
	v_mov_b32_e32 v38, v33
	v_pk_add_f32 v[30:31], v[38:39], v[30:31] neg_lo:[0,1] neg_hi:[0,1]
	v_mov_b32_e32 v44, v34
	v_pk_add_f32 v[32:33], v[44:45], v[30:31]
	v_mov_b32_e32 v36, v33
	v_pk_add_f32 v[36:37], v[32:33], v[36:37]
	v_pk_add_f32 v[38:39], v[24:25], v[36:37]
	v_mov_b32_e32 v35, v41
	v_mov_b32_e32 v33, v38
	v_pk_add_f32 v[40:41], v[32:33], v[34:35] neg_lo:[0,1] neg_hi:[0,1]
	v_mov_b32_e32 v31, v36
	v_sub_f32_e32 v24, v32, v40
	v_pk_add_f32 v[30:31], v[30:31], v[40:41] neg_lo:[0,1] neg_hi:[0,1]
	v_sub_f32_e32 v24, v34, v24
	v_add_f32_e32 v24, v30, v24
	v_add_f32_e32 v24, v24, v31
	;; [unrolled: 1-line block ×3, first 2 shown]
	v_sub_f32_e32 v30, v29, v38
	v_sub_f32_e32 v24, v24, v30
	v_mul_f32_e32 v30, v47, v29
	v_fma_f32 v29, v47, v29, -v30
	v_fmac_f32_e32 v29, v47, v24
	v_add_f32_e32 v24, v30, v29
	v_cmp_class_f32_e64 s[10:11], v30, s42
	v_sub_f32_e32 v31, v24, v30
	v_cndmask_b32_e64 v24, v24, v30, s[10:11]
	v_cmp_eq_f32_e64 s[10:11], s38, v24
	v_cndmask_b32_e64 v30, 0, v27, s[10:11]
	v_sub_f32_e32 v29, v29, v31
	v_sub_f32_e32 v31, v24, v30
	v_mul_f32_e32 v32, 0x3fb8aa3b, v31
	v_fma_f32 v33, v31, s36, -v32
	v_rndne_f32_e32 v34, v32
	v_fmac_f32_e32 v33, 0x32a5705f, v31
	v_sub_f32_e32 v32, v32, v34
	v_add_f32_e32 v32, v32, v33
	v_exp_f32_e32 v32, v32
	v_cvt_i32_f32_e32 v33, v34
	v_cmp_neq_f32_e64 s[10:11], |v24|, s39
	v_cndmask_b32_e64 v24, 0, v29, s[10:11]
	v_cmp_ngt_f32_e64 s[10:11], s37, v31
	v_ldexp_f32 v29, v32, v33
	v_cndmask_b32_e64 v29, 0, v29, s[10:11]
	v_cmp_nlt_f32_e64 s[10:11], s38, v31
	v_add_f32_e32 v24, v30, v24
	v_cndmask_b32_e64 v29, v23, v29, s[10:11]
	v_fma_f32 v24, v29, v24, v29
	v_cmp_class_f32_e64 s[10:11], v29, s42
	v_trunc_f32_e32 v30, v47
	v_cndmask_b32_e64 v24, v24, v29, s[10:11]
	v_cndmask_b32_e64 v29, v16, 1.0, vcc
	v_cmp_eq_f32_e32 vcc, v30, v47
	v_mul_f32_e32 v30, 0.5, v47
	v_trunc_f32_e32 v31, v30
	v_cmp_neq_f32_e64 s[10:11], v31, v30
	s_and_b64 s[10:11], vcc, s[10:11]
	v_cndmask_b32_e64 v30, 1.0, v29, s[10:11]
	v_bfi_b32 v24, s43, v24, v30
	v_cndmask_b32_e32 v30, v28, v24, vcc
	v_cmp_gt_f32_e32 vcc, 0, v29
	v_cndmask_b32_e32 v24, v24, v30, vcc
	v_cndmask_b32_e64 v30, |v46|, 1.0, s[4:5]
	v_cmp_neq_f32_e32 vcc, v47, v30
	v_cmp_gt_f32_e64 s[12:13], 1.0, v49
	s_xor_b64 s[12:13], vcc, s[12:13]
	v_cndmask_b32_e64 v31, v30, 0, s[12:13]
	v_cmp_eq_f32_e32 vcc, 1.0, v49
	v_cmp_eq_f32_e64 s[12:13], 0, v29
	v_cmp_gt_f32_e64 s[14:15], 0, v47
	v_cndmask_b32_e32 v31, v31, v49, vcc
	v_cmp_eq_f32_e32 vcc, s39, v30
	s_xor_b64 s[14:15], s[14:15], s[12:13]
	v_cndmask_b32_e32 v24, v24, v31, vcc
	v_cmp_eq_f32_e32 vcc, s39, v49
	v_cndmask_b32_e64 v30, v23, 0, s[14:15]
	v_cndmask_b32_e64 v31, 0, v29, s[10:11]
	v_bfi_b32 v30, s43, v30, v31
	s_or_b64 vcc, vcc, s[12:13]
	v_cndmask_b32_e32 v24, v24, v30, vcc
	v_cmp_o_f32_e32 vcc, v29, v47
	v_cndmask_b32_e32 v24, v28, v24, vcc
.LBB0_192:                              ;   in Loop: Header=BB0_178 Depth=1
	s_or_b64 exec, exec, s[30:31]
                                        ; implicit-def: $vgpr29
.LBB0_193:                              ;   in Loop: Header=BB0_178 Depth=1
	s_andn2_saveexec_b64 s[10:11], s[22:23]
	s_cbranch_execz .LBB0_176
; %bb.194:                              ;   in Loop: Header=BB0_178 Depth=1
	v_cmp_eq_u32_e32 vcc, 0, v17
	v_mov_b32_e32 v24, 0
	s_and_saveexec_b64 s[12:13], vcc
	s_cbranch_execz .LBB0_175
; %bb.195:                              ;   in Loop: Header=BB0_178 Depth=1
	v_fma_f32 v24, v20, v29, 1.0
	s_branch .LBB0_175
.LBB0_196:
	s_or_b64 exec, exec, s[16:17]
                                        ; implicit-def: $vgpr22
	s_and_saveexec_b64 s[10:11], s[8:9]
	s_xor_b64 s[8:9], exec, s[10:11]
; %bb.197:
	v_sub_u32_e32 v22, v21, v7
                                        ; implicit-def: $vgpr4_vgpr5_vgpr6_vgpr7
                                        ; implicit-def: $vgpr8_vgpr9_vgpr10
                                        ; implicit-def: $vgpr18
                                        ; implicit-def: $vgpr4
; %bb.198:
	s_andn2_saveexec_b64 s[8:9], s[8:9]
; %bb.199:
	v_cmp_eq_u32_e32 vcc, 31, v9
	s_and_b64 s[6:7], vcc, s[6:7]
	v_cndmask_b32_e64 v5, 0, 1, s[6:7]
	v_min_i32_e32 v7, 30, v9
	v_sub_u32_e32 v6, v10, v6
	v_add3_u32 v5, v8, v18, v5
	v_cndmask_b32_e64 v7, v7, 1, s[6:7]
	s_movk_i32 s6, 0x168
	v_mul_lo_u32 v8, v5, 30
	v_mad_u64_u32 v[4:5], s[6:7], v6, s6, v[4:5]
	v_add3_u32 v22, v4, v7, v8
; %bb.200:
	s_or_b64 exec, exec, s[8:9]
	v_cvt_f32_i32_e32 v4, v22
	s_mov_b32 s8, 0x43b40000
	v_div_scale_f32 v5, s[6:7], s8, s8, v4
	v_rcp_f32_e32 v6, v5
	v_div_scale_f32 v7, vcc, v4, s8, v4
	v_fma_f32 v8, -v5, v6, 1.0
	v_fmac_f32_e32 v6, v8, v6
	v_mul_f32_e32 v8, v7, v6
	v_fma_f32 v9, -v5, v8, v7
	v_fmac_f32_e32 v8, v9, v6
	v_fma_f32 v5, -v5, v8, v7
	v_div_fmas_f32 v5, v5, v6, v8
	v_div_fixup_f32 v5, v5, s8, v4
	v_cmp_lt_i32_e32 vcc, 0, v17
                                        ; implicit-def: $vgpr4
	s_and_saveexec_b64 s[6:7], vcc
	s_xor_b64 s[10:11], exec, s[6:7]
	s_cbranch_execz .LBB0_208
; %bb.201:
	v_cmp_lt_i32_e32 vcc, 1, v17
                                        ; implicit-def: $vgpr4
	s_and_saveexec_b64 s[6:7], vcc
	s_xor_b64 s[6:7], exec, s[6:7]
	s_cbranch_execz .LBB0_205
; %bb.202:
	v_cmp_eq_u32_e32 vcc, 2, v17
	v_mov_b32_e32 v4, 0
	s_and_saveexec_b64 s[8:9], vcc
	s_cbranch_execz .LBB0_204
; %bb.203:
	v_mul_f32_e32 v4, v20, v5
	s_mov_b32 s12, 0x3fb8aa3b
	v_mul_f32_e32 v5, 0x3fb8aa3b, v4
	v_fma_f32 v6, v4, s12, -v5
	v_rndne_f32_e32 v7, v5
	v_fmac_f32_e32 v6, 0x32a5705f, v4
	v_sub_f32_e32 v5, v5, v7
	v_add_f32_e32 v5, v5, v6
	v_exp_f32_e32 v5, v5
	v_cvt_i32_f32_e32 v6, v7
	s_mov_b32 s12, 0xc2ce8ed0
	v_cmp_ngt_f32_e32 vcc, s12, v4
	s_mov_b32 s12, 0x42b17218
	v_ldexp_f32 v5, v5, v6
	v_cndmask_b32_e32 v5, 0, v5, vcc
	v_mov_b32_e32 v6, 0x7f800000
	v_cmp_nlt_f32_e32 vcc, s12, v4
	v_cndmask_b32_e32 v4, v6, v5, vcc
.LBB0_204:
	s_or_b64 exec, exec, s[8:9]
                                        ; implicit-def: $vgpr18_vgpr19
                                        ; implicit-def: $vgpr5
                                        ; implicit-def: $vgpr16
.LBB0_205:
	s_andn2_saveexec_b64 s[12:13], s[6:7]
	s_cbranch_execz .LBB0_207
; %bb.206:
	v_mul_f32_e32 v27, v19, v5
	v_cndmask_b32_e64 v30, v27, 1.0, s[4:5]
	v_cmp_eq_f32_e32 vcc, 0, v30
	v_cndmask_b32_e64 v31, |v16|, 1.0, vcc
	v_frexp_mant_f32_e32 v4, v31
	s_mov_b32 s6, 0x3f2aaaab
	v_cmp_gt_f32_e64 s[6:7], s6, v4
	v_cndmask_b32_e64 v5, 1.0, 2.0, s[6:7]
	v_mul_f32_e32 v4, v4, v5
	v_add_f32_e32 v7, 1.0, v4
	v_rcp_f32_e32 v10, v7
	v_add_f32_e32 v5, -1.0, v7
	v_sub_f32_e32 v9, v4, v5
	v_add_f32_e32 v5, -1.0, v4
	v_mul_f32_e32 v17, v5, v10
	v_mul_f32_e32 v6, v7, v17
	v_fma_f32 v8, v17, v7, -v6
	v_fmac_f32_e32 v8, v17, v9
	v_add_f32_e32 v4, v6, v8
	v_sub_f32_e32 v7, v5, v4
	v_pk_add_f32 v[18:19], v[4:5], v[6:7] neg_lo:[0,1] neg_hi:[0,1]
	v_mov_b32_e32 v9, v4
	v_pk_add_f32 v[4:5], v[18:19], v[8:9] neg_lo:[0,1] neg_hi:[0,1]
	v_add_f32_e32 v4, v4, v5
	v_add_f32_e32 v4, v7, v4
	v_mul_f32_e32 v5, v10, v4
	v_add_f32_e32 v4, v17, v5
	v_sub_f32_e32 v6, v4, v17
	v_sub_f32_e32 v10, v5, v6
	v_mul_f32_e32 v5, v4, v4
	v_fma_f32 v7, v4, v4, -v5
	v_add_f32_e32 v6, v10, v10
	v_fmac_f32_e32 v7, v4, v6
	v_add_f32_e32 v6, v5, v7
	v_mov_b32_e32 v8, 0x3e91f4c4
	v_fmac_f32_e32 v8, 0x3e76c4e1, v6
	v_mov_b32_e32 v9, 0x3ecccdef
	v_fmac_f32_e32 v9, v6, v8
	v_sub_f32_e32 v5, v6, v5
	v_sub_f32_e32 v17, v7, v5
	v_mul_f32_e32 v5, v6, v9
	v_fma_f32 v7, v6, v9, -v5
	v_fmac_f32_e32 v7, v17, v9
	v_add_f32_e32 v8, v5, v7
	v_add_f32_e32 v9, 0x3f2aaaaa, v8
	v_sub_f32_e32 v5, v8, v5
	v_sub_f32_e32 v5, v7, v5
	v_add_f32_e32 v7, 0xbf2aaaaa, v9
	v_add_f32_e32 v5, 0x31739010, v5
	v_sub_f32_e32 v7, v8, v7
	v_pk_mul_f32 v[18:19], v[4:5], v[6:7]
	v_fma_f32 v8, v6, v4, -v18
	v_pk_add_f32 v[20:21], v[4:5], v[6:7]
	v_fmac_f32_e32 v8, v6, v10
	v_mov_b32_e32 v19, v21
	v_fmac_f32_e32 v8, v17, v4
	v_pk_add_f32 v[6:7], v[18:19], v[8:9]
	v_sub_f32_e32 v5, v6, v18
	v_sub_f32_e32 v5, v8, v5
	;; [unrolled: 1-line block ×3, first 2 shown]
	v_add_f32_e32 v17, v21, v8
	v_mov_b32_e32 v8, v7
	v_pk_mul_f32 v[8:9], v[6:7], v[8:9]
	v_cvt_f64_f32_e32 v[20:21], v31
	v_frexp_exp_i32_f64_e32 v9, v[20:21]
	v_subbrev_co_u32_e64 v9, s[6:7], 0, v9, s[6:7]
	v_cvt_f32_i32_e32 v9, v9
	v_fma_f32 v18, v6, v7, -v8
	v_fmac_f32_e32 v18, v6, v17
	s_mov_b32 s6, 0x3f317218
	v_mul_f32_e32 v6, 0x3f317218, v9
	v_fmac_f32_e32 v18, v5, v7
	v_fma_f32 v20, v9, s6, -v6
	v_fmac_f32_e32 v20, 0xb102e308, v9
	v_ldexp_f32 v21, v4, 1
	v_add_f32_e32 v7, v8, v18
	v_pk_add_f32 v[4:5], v[6:7], v[20:21]
	v_mov_b32_e32 v22, v7
	v_mov_b32_e32 v23, v5
	;; [unrolled: 1-line block ×3, first 2 shown]
	v_pk_add_f32 v[8:9], v[22:23], v[8:9] neg_lo:[0,1] neg_hi:[0,1]
	v_mov_b32_e32 v19, v7
	v_ldexp_f32 v10, v10, 1
	v_pk_add_f32 v[8:9], v[18:19], v[8:9] neg_lo:[0,1] neg_hi:[0,1]
	v_add_f32_e32 v7, v10, v8
	v_add_f32_e32 v7, v7, v9
	v_pk_add_f32 v[8:9], v[4:5], v[6:7] neg_lo:[0,1] neg_hi:[0,1]
	v_pk_add_f32 v[18:19], v[4:5], v[6:7]
	v_mov_b32_e32 v22, v8
	v_mov_b32_e32 v23, v19
	v_mov_b32_e32 v21, v4
	v_pk_add_f32 v[22:23], v[20:21], v[22:23]
	v_mov_b32_e32 v6, v23
	v_pk_add_f32 v[24:25], v[6:7], v[4:5] neg_lo:[0,1] neg_hi:[0,1]
	v_mov_b32_e32 v17, v24
	v_mov_b32_e32 v22, v19
	;; [unrolled: 1-line block ×4, first 2 shown]
	v_pk_add_f32 v[8:9], v[20:21], v[8:9] neg_lo:[0,1] neg_hi:[0,1]
	v_pk_add_f32 v[28:29], v[18:19], v[16:17] neg_lo:[0,1] neg_hi:[0,1]
	;; [unrolled: 1-line block ×3, first 2 shown]
	v_mov_b32_e32 v20, v7
	v_pk_add_f32 v[4:5], v[20:21], v[4:5] neg_lo:[0,1] neg_hi:[0,1]
	v_mov_b32_e32 v28, v8
	v_pk_add_f32 v[18:19], v[28:29], v[4:5]
	v_mov_b32_e32 v10, v19
	v_pk_add_f32 v[20:21], v[18:19], v[10:11]
	v_pk_add_f32 v[6:7], v[6:7], v[20:21]
	v_mov_b32_e32 v9, v23
	v_mov_b32_e32 v19, v6
	v_pk_add_f32 v[22:23], v[18:19], v[8:9] neg_lo:[0,1] neg_hi:[0,1]
	v_mov_b32_e32 v5, v20
	v_sub_f32_e32 v7, v18, v22
	v_pk_add_f32 v[4:5], v[4:5], v[22:23] neg_lo:[0,1] neg_hi:[0,1]
	v_sub_f32_e32 v7, v8, v7
	v_add_f32_e32 v4, v4, v7
	v_add_f32_e32 v4, v4, v5
	;; [unrolled: 1-line block ×3, first 2 shown]
	v_sub_f32_e32 v6, v5, v6
	v_sub_f32_e32 v4, v4, v6
	v_mul_f32_e32 v6, v30, v5
	v_fma_f32 v5, v30, v5, -v6
	v_fmac_f32_e32 v5, v30, v4
	s_movk_i32 s8, 0x204
	v_add_f32_e32 v4, v6, v5
	v_cmp_class_f32_e64 s[6:7], v6, s8
	v_sub_f32_e32 v7, v4, v6
	v_cndmask_b32_e64 v4, v4, v6, s[6:7]
	s_mov_b32 s14, 0x42b17218
	v_mov_b32_e32 v6, 0x37000000
	v_cmp_eq_f32_e64 s[6:7], s14, v4
	v_cndmask_b32_e64 v6, 0, v6, s[6:7]
	v_sub_f32_e32 v5, v5, v7
	v_sub_f32_e32 v7, v4, v6
	s_mov_b32 s6, 0x3fb8aa3b
	v_mul_f32_e32 v8, 0x3fb8aa3b, v7
	v_fma_f32 v9, v7, s6, -v8
	v_rndne_f32_e32 v10, v8
	v_fmac_f32_e32 v9, 0x32a5705f, v7
	v_sub_f32_e32 v8, v8, v10
	v_add_f32_e32 v8, v8, v9
	v_exp_f32_e32 v8, v8
	v_cvt_i32_f32_e32 v9, v10
	s_mov_b32 s9, 0x7f800000
	v_cmp_neq_f32_e64 s[6:7], |v4|, s9
	v_cndmask_b32_e64 v4, 0, v5, s[6:7]
	s_mov_b32 s6, 0xc2ce8ed0
	v_ldexp_f32 v5, v8, v9
	v_cmp_ngt_f32_e64 s[6:7], s6, v7
	v_add_f32_e32 v4, v6, v4
	v_cndmask_b32_e64 v5, 0, v5, s[6:7]
	v_mov_b32_e32 v6, 0x7f800000
	v_cmp_nlt_f32_e64 s[6:7], s14, v7
	v_cndmask_b32_e64 v5, v6, v5, s[6:7]
	v_fma_f32 v4, v5, v4, v5
	v_cmp_class_f32_e64 s[6:7], v5, s8
	v_trunc_f32_e32 v7, v30
	v_cndmask_b32_e64 v4, v4, v5, s[6:7]
	v_cndmask_b32_e64 v5, v16, 1.0, vcc
	v_cmp_eq_f32_e32 vcc, v7, v30
	v_mul_f32_e32 v7, 0.5, v30
	v_trunc_f32_e32 v9, v7
	v_cmp_neq_f32_e64 s[6:7], v9, v7
	s_and_b64 s[6:7], vcc, s[6:7]
	v_cndmask_b32_e64 v7, 1.0, v5, s[6:7]
	s_brev_b32 s14, -2
	v_mov_b32_e32 v8, 0x7fc00000
	v_bfi_b32 v4, s14, v4, v7
	v_cndmask_b32_e32 v7, v8, v4, vcc
	v_cmp_gt_f32_e32 vcc, 0, v5
	v_cndmask_b32_e32 v4, v4, v7, vcc
	v_cndmask_b32_e64 v7, |v27|, 1.0, s[4:5]
	v_cmp_neq_f32_e32 vcc, v30, v7
	v_cmp_gt_f32_e64 s[4:5], 1.0, v31
	s_xor_b64 s[4:5], vcc, s[4:5]
	v_cndmask_b32_e64 v9, v7, 0, s[4:5]
	v_cmp_eq_f32_e32 vcc, 1.0, v31
	v_cndmask_b32_e32 v9, v9, v31, vcc
	v_cmp_eq_f32_e32 vcc, s9, v7
	v_cndmask_b32_e32 v4, v4, v9, vcc
	v_cmp_eq_f32_e32 vcc, s9, v31
	v_cmp_eq_f32_e64 s[4:5], 0, v5
	v_cmp_gt_f32_e64 s[8:9], 0, v30
	s_xor_b64 s[8:9], s[8:9], s[4:5]
	v_cndmask_b32_e64 v6, v6, 0, s[8:9]
	v_cndmask_b32_e64 v7, 0, v5, s[6:7]
	v_bfi_b32 v6, s14, v6, v7
	s_or_b64 vcc, vcc, s[4:5]
	v_cndmask_b32_e32 v4, v4, v6, vcc
	v_cmp_o_f32_e32 vcc, v5, v30
	v_cndmask_b32_e32 v4, v8, v4, vcc
.LBB0_207:
	s_or_b64 exec, exec, s[12:13]
                                        ; implicit-def: $vgpr17
                                        ; implicit-def: $vgpr20
                                        ; implicit-def: $vgpr5
.LBB0_208:
	s_andn2_saveexec_b64 s[4:5], s[10:11]
	s_cbranch_execz .LBB0_212
; %bb.209:
	v_cmp_eq_u32_e32 vcc, 0, v17
	v_mov_b32_e32 v4, 0
	s_and_saveexec_b64 s[6:7], vcc
; %bb.210:
	v_fma_f32 v4, v20, v5, 1.0
; %bb.211:
	s_or_b64 exec, exec, s[6:7]
.LBB0_212:
	s_or_b64 exec, exec, s[4:5]
	v_div_scale_f32 v5, s[4:5], v4, v4, 1.0
	v_rcp_f32_e32 v6, v5
	v_div_scale_f32 v7, vcc, 1.0, v4, 1.0
	s_mov_b32 s6, 0x42c80000
	v_fma_f32 v8, -v5, v6, 1.0
	v_fmac_f32_e32 v6, v8, v6
	v_mul_f32_e32 v8, v7, v6
	v_fma_f32 v9, -v5, v8, v7
	v_fmac_f32_e32 v8, v9, v6
	v_fma_f32 v5, -v5, v8, v7
	v_div_fmas_f32 v5, v5, v6, v8
	v_div_fixup_f32 v4, v5, v4, 1.0
	v_div_scale_f32 v5, s[4:5], v4, v4, v11
	v_rcp_f32_e32 v6, v5
	s_mov_b32 s10, 0
	s_mov_b32 s11, 12
	v_fma_f32 v7, -v5, v6, 1.0
	v_fmac_f32_e32 v6, v7, v6
	v_div_scale_f32 v7, vcc, v11, v4, v11
	v_mul_f32_e32 v8, v7, v6
	v_fma_f32 v9, -v5, v8, v7
	v_fmac_f32_e32 v8, v9, v6
	v_fma_f32 v5, -v5, v8, v7
	v_div_fmas_f32 v5, v5, v6, v8
	v_div_fixup_f32 v4, v5, v4, v11
	v_mul_f32_e32 v4, 0x42c80000, v4
	v_div_scale_f32 v5, s[4:5], s6, s6, v4
	v_rcp_f32_e32 v6, v5
	s_mov_b64 s[4:5], 0
	v_fma_f32 v7, -v5, v6, 1.0
	v_fmac_f32_e32 v6, v7, v6
	v_div_scale_f32 v7, vcc, v4, s6, v4
	v_mul_f32_e32 v8, v7, v6
	v_fma_f32 v9, -v5, v8, v7
	v_fmac_f32_e32 v8, v9, v6
	v_fma_f32 v5, -v5, v8, v7
	v_div_fmas_f32 v5, v5, v6, v8
	v_div_fixup_f32 v6, v5, s6, v4
	v_mov_b32_e32 v5, s25
	v_add_co_u32_e32 v4, vcc, s24, v12
	v_addc_co_u32_e32 v5, vcc, v5, v13, vcc
	global_store_dword v[4:5], v6, off
	v_mov_b32_e32 v6, 0x230
                                        ; implicit-def: $sgpr6_sgpr7
	s_branch .LBB0_214
.LBB0_213:                              ;   in Loop: Header=BB0_214 Depth=1
	s_or_b64 exec, exec, s[8:9]
	s_and_b64 s[8:9], exec, s[6:7]
	s_or_b64 s[4:5], s[8:9], s[4:5]
	s_andn2_b64 exec, exec, s[4:5]
	s_cbranch_execz .LBB0_216
.LBB0_214:                              ; =>This Inner Loop Header: Depth=1
	v_add_u32_e32 v7, s11, v6
	buffer_load_dword v7, v7, s[0:3], 0 offen
	v_mov_b32_e32 v9, s10
	s_or_b64 s[6:7], s[6:7], exec
	s_waitcnt vmcnt(0)
	v_cmp_lt_i32_e32 vcc, v7, v3
	s_and_saveexec_b64 s[8:9], vcc
	s_cbranch_execz .LBB0_213
; %bb.215:                              ;   in Loop: Header=BB0_214 Depth=1
	s_add_i32 s10, s10, 1
	v_cmp_eq_u32_e32 vcc, s10, v26
	s_andn2_b64 s[6:7], s[6:7], exec
	s_and_b64 s[12:13], vcc, exec
	s_add_i32 s11, s11, 52
	s_or_b64 s[6:7], s[6:7], s[12:13]
	v_mov_b32_e32 v9, v48
	s_branch .LBB0_213
.LBB0_216:
	s_or_b64 exec, exec, s[4:5]
	v_cmp_le_u32_e32 vcc, v9, v48
	v_mov_b32_e32 v6, 0
	s_and_saveexec_b64 s[6:7], vcc
	s_cbranch_execz .LBB0_224
; %bb.217:
	v_mov_b32_e32 v6, s19
	v_add_co_u32_e32 v7, vcc, s18, v14
	v_addc_co_u32_e32 v8, vcc, v6, v15, vcc
	v_add_co_u32_e32 v6, vcc, 12, v7
	v_addc_co_u32_e32 v7, vcc, 0, v8, vcc
	v_mul_lo_u32 v8, v9, 52
	v_mov_b32_e32 v10, 0x230
	v_add3_u32 v8, v8, v10, 16
	v_add_u32_e32 v10, -1, v9
	s_mov_b64 s[8:9], 0
	v_mov_b32_e32 v9, 0
	s_movk_i32 s14, 0x168
	s_mov_b32 s15, 0x43b40000
	s_branch .LBB0_220
.LBB0_218:                              ;   in Loop: Header=BB0_220 Depth=1
	s_or_b64 exec, exec, s[12:13]
.LBB0_219:                              ;   in Loop: Header=BB0_220 Depth=1
	s_or_b64 exec, exec, s[10:11]
	v_add_u32_e32 v10, 1, v10
	v_cmp_ge_u32_e32 vcc, v10, v48
	v_add_f32_e32 v9, v9, v11
	s_or_b64 s[8:9], vcc, s[8:9]
	v_add_u32_e32 v8, 52, v8
	s_andn2_b64 exec, exec, s[8:9]
	s_cbranch_execz .LBB0_223
.LBB0_220:                              ; =>This Inner Loop Header: Depth=1
	buffer_load_dword v11, v8, s[0:3], 0 offen offset:12
	s_waitcnt vmcnt(0)
	v_cmp_lt_i32_e32 vcc, v11, v3
	v_mov_b32_e32 v11, 0
	s_and_saveexec_b64 s[10:11], vcc
	s_cbranch_execz .LBB0_219
; %bb.221:                              ;   in Loop: Header=BB0_220 Depth=1
	global_load_dword v11, v[6:7], off
	s_waitcnt vmcnt(0)
	v_cmp_ge_i32_e32 vcc, v11, v3
	v_mov_b32_e32 v11, 0
	s_and_saveexec_b64 s[12:13], vcc
	s_cbranch_execz .LBB0_218
; %bb.222:                              ;   in Loop: Header=BB0_220 Depth=1
	buffer_load_dword v11, v8, s[0:3], 0 offen offset:28
	buffer_load_dword v14, v8, s[0:3], 0 offen offset:16
	buffer_load_dword v15, v8, s[0:3], 0 offen offset:4
	buffer_load_dword v16, v8, s[0:3], 0 offen
	buffer_load_dword v17, v8, s[0:3], 0 offen offset:20
	buffer_load_dword v18, v8, s[0:3], 0 offen offset:24
	;; [unrolled: 1-line block ×3, first 2 shown]
	s_waitcnt vmcnt(6)
	v_cmp_gt_i32_e32 vcc, v11, v3
	s_waitcnt vmcnt(5)
	v_cndmask_b32_e32 v11, v14, v0, vcc
	s_waitcnt vmcnt(4)
	v_cmp_gt_i32_e64 s[4:5], 30, v15
	v_sub_u32_e32 v14, 30, v15
	s_waitcnt vmcnt(2)
	v_cndmask_b32_e32 v15, v17, v1, vcc
	s_waitcnt vmcnt(1)
	v_cndmask_b32_e32 v17, v18, v2, vcc
	v_cmp_eq_u32_e32 vcc, 31, v15
	v_not_b32_e32 v16, v16
	v_max_i32_e32 v14, 0, v14
	v_min_i32_e32 v18, 30, v15
	s_waitcnt vmcnt(0)
	v_sub_u32_e32 v15, v17, v19
	s_and_b64 vcc, vcc, s[4:5]
	v_addc_co_u32_e64 v11, s[4:5], v11, v16, vcc
	v_mad_u64_u32 v[14:15], s[4:5], v15, s14, v[14:15]
	v_mul_lo_u32 v11, v11, 30
	v_cndmask_b32_e64 v15, v18, 1, vcc
	v_add3_u32 v11, v14, v15, v11
	v_cvt_f32_i32_e32 v11, v11
	v_div_scale_f32 v14, s[4:5], s15, s15, v11
	v_rcp_f32_e32 v15, v14
	v_div_scale_f32 v16, vcc, v11, s15, v11
	v_fma_f32 v17, -v14, v15, 1.0
	v_fmac_f32_e32 v15, v17, v15
	v_mul_f32_e32 v17, v16, v15
	v_fma_f32 v18, -v14, v17, v16
	v_fmac_f32_e32 v17, v18, v15
	v_fma_f32 v14, -v14, v17, v16
	v_div_fmas_f32 v14, v14, v15, v17
	v_div_fixup_f32 v11, v14, s15, v11
	buffer_load_dword v14, off, s[0:3], 0 offset:1028 ; 4-byte Folded Reload
	s_waitcnt vmcnt(0)
	v_fma_f32 v11, v14, v11, 1.0
	v_add_f32_e32 v11, -1.0, v11
	v_mul_f32_e32 v11, 0x42c80000, v11
	s_branch .LBB0_218
.LBB0_223:
	s_or_b64 exec, exec, s[8:9]
	v_mul_f32_e32 v6, 0x42c80000, v9
.LBB0_224:
	s_or_b64 exec, exec, s[6:7]
	s_mov_b32 s6, 0x42c80000
	v_div_scale_f32 v0, s[4:5], s6, s6, v6
	v_rcp_f32_e32 v1, v0
	v_div_scale_f32 v2, vcc, v6, s6, v6
	v_fma_f32 v3, -v0, v1, 1.0
	v_fmac_f32_e32 v1, v3, v1
	v_mul_f32_e32 v3, v2, v1
	v_fma_f32 v7, -v0, v3, v2
	v_fmac_f32_e32 v3, v7, v1
	v_fma_f32 v0, -v0, v3, v2
	v_div_fmas_f32 v0, v0, v1, v3
	v_div_fixup_f32 v2, v0, s6, v6
	v_mov_b32_e32 v1, s27
	v_add_co_u32_e32 v0, vcc, s26, v12
	v_addc_co_u32_e32 v1, vcc, v1, v13, vcc
	global_store_dword v[0:1], v2, off
	global_load_dword v0, v[4:5], off
	v_mov_b32_e32 v1, s29
	s_waitcnt vmcnt(0)
	v_sub_f32_e32 v2, v0, v2
	v_add_co_u32_e32 v0, vcc, s28, v12
	v_addc_co_u32_e32 v1, vcc, v1, v13, vcc
	global_store_dword v[0:1], v2, off
.LBB0_225:
	s_endpgm
	.section	.rodata,"a",@progbits
	.p2align	6, 0x0
	.amdhsa_kernel _Z5bonds12inArgsStruct13resultsStructi
		.amdhsa_group_segment_fixed_size 0
		.amdhsa_private_segment_fixed_size 1056
		.amdhsa_kernarg_size 352
		.amdhsa_user_sgpr_count 8
		.amdhsa_user_sgpr_private_segment_buffer 1
		.amdhsa_user_sgpr_dispatch_ptr 0
		.amdhsa_user_sgpr_queue_ptr 0
		.amdhsa_user_sgpr_kernarg_segment_ptr 1
		.amdhsa_user_sgpr_dispatch_id 0
		.amdhsa_user_sgpr_flat_scratch_init 1
		.amdhsa_user_sgpr_kernarg_preload_length 0
		.amdhsa_user_sgpr_kernarg_preload_offset 0
		.amdhsa_user_sgpr_private_segment_size 0
		.amdhsa_uses_dynamic_stack 0
		.amdhsa_system_sgpr_private_segment_wavefront_offset 1
		.amdhsa_system_sgpr_workgroup_id_x 1
		.amdhsa_system_sgpr_workgroup_id_y 0
		.amdhsa_system_sgpr_workgroup_id_z 0
		.amdhsa_system_sgpr_workgroup_info 0
		.amdhsa_system_vgpr_workitem_id 0
		.amdhsa_next_free_vgpr 128
		.amdhsa_next_free_sgpr 64
		.amdhsa_accum_offset 128
		.amdhsa_reserve_vcc 1
		.amdhsa_reserve_flat_scratch 0
		.amdhsa_float_round_mode_32 0
		.amdhsa_float_round_mode_16_64 0
		.amdhsa_float_denorm_mode_32 3
		.amdhsa_float_denorm_mode_16_64 3
		.amdhsa_dx10_clamp 1
		.amdhsa_ieee_mode 1
		.amdhsa_fp16_overflow 0
		.amdhsa_tg_split 0
		.amdhsa_exception_fp_ieee_invalid_op 0
		.amdhsa_exception_fp_denorm_src 0
		.amdhsa_exception_fp_ieee_div_zero 0
		.amdhsa_exception_fp_ieee_overflow 0
		.amdhsa_exception_fp_ieee_underflow 0
		.amdhsa_exception_fp_ieee_inexact 0
		.amdhsa_exception_int_div_zero 0
	.end_amdhsa_kernel
	.text
.Lfunc_end0:
	.size	_Z5bonds12inArgsStruct13resultsStructi, .Lfunc_end0-_Z5bonds12inArgsStruct13resultsStructi
                                        ; -- End function
	.section	.AMDGPU.csdata,"",@progbits
; Kernel info:
; codeLenInByte = 37572
; NumSgprs: 68
; NumVgprs: 128
; NumAgprs: 0
; TotalNumVgprs: 128
; ScratchSize: 1056
; MemoryBound: 1
; FloatMode: 240
; IeeeMode: 1
; LDSByteSize: 0 bytes/workgroup (compile time only)
; SGPRBlocks: 8
; VGPRBlocks: 15
; NumSGPRsForWavesPerEU: 68
; NumVGPRsForWavesPerEU: 128
; AccumOffset: 128
; Occupancy: 4
; WaveLimiterHint : 0
; COMPUTE_PGM_RSRC2:SCRATCH_EN: 1
; COMPUTE_PGM_RSRC2:USER_SGPR: 8
; COMPUTE_PGM_RSRC2:TRAP_HANDLER: 0
; COMPUTE_PGM_RSRC2:TGID_X_EN: 1
; COMPUTE_PGM_RSRC2:TGID_Y_EN: 0
; COMPUTE_PGM_RSRC2:TGID_Z_EN: 0
; COMPUTE_PGM_RSRC2:TIDIG_COMP_CNT: 0
; COMPUTE_PGM_RSRC3_GFX90A:ACCUM_OFFSET: 31
; COMPUTE_PGM_RSRC3_GFX90A:TG_SPLIT: 0
	.text
	.p2alignl 6, 3212836864
	.fill 256, 4, 3212836864
	.type	__hip_cuid_318faaa118f8dc7c,@object ; @__hip_cuid_318faaa118f8dc7c
	.section	.bss,"aw",@nobits
	.globl	__hip_cuid_318faaa118f8dc7c
__hip_cuid_318faaa118f8dc7c:
	.byte	0                               ; 0x0
	.size	__hip_cuid_318faaa118f8dc7c, 1

	.ident	"AMD clang version 19.0.0git (https://github.com/RadeonOpenCompute/llvm-project roc-6.4.0 25133 c7fe45cf4b819c5991fe208aaa96edf142730f1d)"
	.section	".note.GNU-stack","",@progbits
	.addrsig
	.addrsig_sym __hip_cuid_318faaa118f8dc7c
	.amdgpu_metadata
---
amdhsa.kernels:
  - .agpr_count:     0
    .args:
      - .offset:         0
        .size:           56
        .value_kind:     by_value
      - .offset:         56
        .size:           32
        .value_kind:     by_value
      - .offset:         88
        .size:           4
        .value_kind:     by_value
      - .offset:         96
        .size:           4
        .value_kind:     hidden_block_count_x
      - .offset:         100
        .size:           4
        .value_kind:     hidden_block_count_y
      - .offset:         104
        .size:           4
        .value_kind:     hidden_block_count_z
      - .offset:         108
        .size:           2
        .value_kind:     hidden_group_size_x
      - .offset:         110
        .size:           2
        .value_kind:     hidden_group_size_y
      - .offset:         112
        .size:           2
        .value_kind:     hidden_group_size_z
      - .offset:         114
        .size:           2
        .value_kind:     hidden_remainder_x
      - .offset:         116
        .size:           2
        .value_kind:     hidden_remainder_y
      - .offset:         118
        .size:           2
        .value_kind:     hidden_remainder_z
      - .offset:         136
        .size:           8
        .value_kind:     hidden_global_offset_x
      - .offset:         144
        .size:           8
        .value_kind:     hidden_global_offset_y
      - .offset:         152
        .size:           8
        .value_kind:     hidden_global_offset_z
      - .offset:         160
        .size:           2
        .value_kind:     hidden_grid_dims
    .group_segment_fixed_size: 0
    .kernarg_segment_align: 8
    .kernarg_segment_size: 352
    .language:       OpenCL C
    .language_version:
      - 2
      - 0
    .max_flat_workgroup_size: 1024
    .name:           _Z5bonds12inArgsStruct13resultsStructi
    .private_segment_fixed_size: 1056
    .sgpr_count:     68
    .sgpr_spill_count: 0
    .symbol:         _Z5bonds12inArgsStruct13resultsStructi.kd
    .uniform_work_group_size: 1
    .uses_dynamic_stack: false
    .vgpr_count:     128
    .vgpr_spill_count: 5
    .wavefront_size: 64
amdhsa.target:   amdgcn-amd-amdhsa--gfx90a
amdhsa.version:
  - 1
  - 2
...

	.end_amdgpu_metadata
